;; amdgpu-corpus repo=ROCm/rocFFT kind=compiled arch=gfx1201 opt=O3
	.text
	.amdgcn_target "amdgcn-amd-amdhsa--gfx1201"
	.amdhsa_code_object_version 6
	.protected	fft_rtc_back_len289_factors_17_17_wgs_119_tpt_17_dp_op_CI_CI_sbcc_twdbase6_3step_dirReg_intrinsicReadWrite ; -- Begin function fft_rtc_back_len289_factors_17_17_wgs_119_tpt_17_dp_op_CI_CI_sbcc_twdbase6_3step_dirReg_intrinsicReadWrite
	.globl	fft_rtc_back_len289_factors_17_17_wgs_119_tpt_17_dp_op_CI_CI_sbcc_twdbase6_3step_dirReg_intrinsicReadWrite
	.p2align	8
	.type	fft_rtc_back_len289_factors_17_17_wgs_119_tpt_17_dp_op_CI_CI_sbcc_twdbase6_3step_dirReg_intrinsicReadWrite,@function
fft_rtc_back_len289_factors_17_17_wgs_119_tpt_17_dp_op_CI_CI_sbcc_twdbase6_3step_dirReg_intrinsicReadWrite: ; @fft_rtc_back_len289_factors_17_17_wgs_119_tpt_17_dp_op_CI_CI_sbcc_twdbase6_3step_dirReg_intrinsicReadWrite
; %bb.0:
	s_clause 0x3
	s_load_b64 s[22:23], s[0:1], 0x0
	s_load_b256 s[4:11], s[0:1], 0x8
	s_load_b128 s[12:15], s[0:1], 0x60
	s_load_b64 s[24:25], s[0:1], 0x28
	v_mov_b32_e32 v9, v0
	s_mov_b32 s1, exec_lo
	s_delay_alu instid0(VALU_DEP_1)
	v_cmpx_gt_u32_e32 0xc0, v9
	s_cbranch_execz .LBB0_3
; %bb.1:
	v_lshlrev_b32_e32 v4, 4, v9
	v_add_co_u32 v0, s0, 0xffffff89, v9
	s_delay_alu instid0(VALU_DEP_1) | instskip(SKIP_1) | instid1(VALU_DEP_3)
	v_add_co_ci_u32_e64 v1, null, 0, -1, s0
	s_wait_kmcnt 0x0
	v_add_co_u32 v2, s0, s4, v4
	s_wait_alu 0xf1ff
	v_add_co_ci_u32_e64 v3, null, s5, 0, s0
	v_add3_u32 v4, v4, 0, 0x7e70
	s_mov_b32 s2, 0
.LBB0_2:                                ; =>This Inner Loop Header: Depth=1
	global_load_b128 v[5:8], v[2:3], off
	v_add_co_u32 v0, vcc_lo, 0x77, v0
	s_wait_alu 0xfffd
	v_add_co_ci_u32_e32 v1, vcc_lo, 0, v1, vcc_lo
	v_add_co_u32 v2, vcc_lo, 0x770, v2
	s_wait_alu 0xfffd
	v_add_co_ci_u32_e32 v3, vcc_lo, 0, v3, vcc_lo
	s_delay_alu instid0(VALU_DEP_3) | instskip(NEXT) | instid1(VALU_DEP_1)
	v_cmp_lt_u64_e64 s0, 0x48, v[0:1]
	s_or_b32 s2, s0, s2
	s_wait_loadcnt 0x0
	ds_store_2addr_b64 v4, v[5:6], v[7:8] offset1:1
	v_add_nc_u32_e32 v4, 0x770, v4
	s_and_not1_b32 exec_lo, exec_lo, s2
	s_cbranch_execnz .LBB0_2
.LBB0_3:
	s_or_b32 exec_lo, exec_lo, s1
	s_mov_b32 s29, 0
	s_mov_b32 s0, 0x92481000
	s_movk_i32 s1, 0x64
	s_mov_b32 s28, s29
	s_wait_kmcnt 0x0
	s_load_b64 s[26:27], s[8:9], 0x8
	s_add_nc_u64 s[0:1], s[28:29], s[0:1]
	s_mov_b64 s[20:21], 0
	s_wait_alu 0xfffe
	s_add_co_i32 s1, s1, 0x249248c0
	s_wait_alu 0xfffe
	s_mul_u64 s[2:3], s[0:1], -7
	s_delay_alu instid0(SALU_CYCLE_1)
	s_mul_hi_u32 s5, s0, s3
	s_mul_i32 s4, s0, s3
	s_mul_hi_u32 s28, s0, s2
	s_mul_hi_u32 s16, s1, s2
	s_mul_i32 s2, s1, s2
	s_wait_alu 0xfffe
	s_add_nc_u64 s[4:5], s[28:29], s[4:5]
	s_mul_hi_u32 s17, s1, s3
	s_wait_alu 0xfffe
	s_add_co_u32 s2, s4, s2
	s_add_co_ci_u32 s28, s5, s16
	s_add_co_ci_u32 s5, s17, 0
	s_mul_i32 s4, s1, s3
	s_wait_alu 0xfffe
	s_add_nc_u64 s[2:3], s[28:29], s[4:5]
	s_wait_kmcnt 0x0
	s_add_nc_u64 s[4:5], s[26:27], -1
	v_add_co_u32 v0, s0, s0, s2
	s_delay_alu instid0(VALU_DEP_1) | instskip(SKIP_1) | instid1(VALU_DEP_1)
	s_cmp_lg_u32 s0, 0
	s_add_co_ci_u32 s2, s1, s3
	v_readfirstlane_b32 s3, v0
	s_wait_alu 0xfffe
	s_mul_hi_u32 s1, s4, s2
	s_mul_i32 s0, s4, s2
	s_mul_hi_u32 s16, s5, s2
	s_mul_i32 s2, s5, s2
	s_mul_hi_u32 s28, s4, s3
	s_mul_i32 s17, s5, s3
	s_wait_alu 0xfffe
	s_add_nc_u64 s[0:1], s[28:29], s[0:1]
	s_mul_hi_u32 s3, s5, s3
	s_wait_alu 0xfffe
	s_add_co_u32 s0, s0, s17
	s_add_co_ci_u32 s28, s1, s3
	s_add_co_ci_u32 s3, s16, 0
	s_wait_alu 0xfffe
	s_add_nc_u64 s[0:1], s[28:29], s[2:3]
	s_wait_alu 0xfffe
	s_mov_b32 s28, ttmp9
	s_mul_u64 s[2:3], s[0:1], 7
	s_wait_alu 0xfffe
	v_sub_co_u32 v0, s2, s4, s2
	s_delay_alu instid0(VALU_DEP_1) | instskip(SKIP_1) | instid1(VALU_DEP_1)
	s_cmp_lg_u32 s2, 0
	s_sub_co_ci_u32 s16, s5, s3
	v_sub_co_u32 v1, s4, v0, 7
	s_delay_alu instid0(VALU_DEP_1) | instskip(SKIP_2) | instid1(VALU_DEP_2)
	s_cmp_lg_u32 s4, 0
	v_readfirstlane_b32 s18, v0
	s_sub_co_ci_u32 s4, s16, 0
	v_readfirstlane_b32 s2, v1
	s_delay_alu instid0(VALU_DEP_1)
	s_cmp_gt_u32 s2, 6
	s_add_nc_u64 s[2:3], s[0:1], 1
	s_cselect_b32 s17, -1, 0
	s_wait_alu 0xfffe
	s_cmp_eq_u32 s4, 0
	s_add_nc_u64 s[4:5], s[0:1], 2
	s_cselect_b32 s17, s17, -1
	s_delay_alu instid0(SALU_CYCLE_1)
	s_cmp_lg_u32 s17, 0
	s_wait_alu 0xfffe
	s_cselect_b32 s2, s4, s2
	s_cselect_b32 s3, s5, s3
	s_cmp_gt_u32 s18, 6
	s_cselect_b32 s4, -1, 0
	s_cmp_eq_u32 s16, 0
	s_wait_alu 0xfffe
	s_cselect_b32 s4, s4, -1
	s_wait_alu 0xfffe
	s_cmp_lg_u32 s4, 0
	s_cselect_b32 s1, s3, s1
	s_cselect_b32 s0, s2, s0
	s_wait_alu 0xfffe
	s_add_nc_u64 s[34:35], s[0:1], 1
	s_delay_alu instid0(SALU_CYCLE_1) | instskip(NEXT) | instid1(VALU_DEP_1)
	v_cmp_lt_u64_e64 s0, s[28:29], s[34:35]
	s_and_b32 vcc_lo, exec_lo, s0
	s_wait_alu 0xfffe
	s_cbranch_vccnz .LBB0_5
; %bb.4:
	v_cvt_f32_u32_e32 v0, s34
	s_sub_co_i32 s1, 0, s34
	s_mov_b32 s21, s29
	s_delay_alu instid0(VALU_DEP_1) | instskip(NEXT) | instid1(TRANS32_DEP_1)
	v_rcp_iflag_f32_e32 v0, v0
	v_mul_f32_e32 v0, 0x4f7ffffe, v0
	s_delay_alu instid0(VALU_DEP_1) | instskip(NEXT) | instid1(VALU_DEP_1)
	v_cvt_u32_f32_e32 v0, v0
	v_readfirstlane_b32 s0, v0
	s_wait_alu 0xfffe
	s_delay_alu instid0(VALU_DEP_1)
	s_mul_i32 s1, s1, s0
	s_wait_alu 0xfffe
	s_mul_hi_u32 s1, s0, s1
	s_wait_alu 0xfffe
	s_add_co_i32 s0, s0, s1
	s_wait_alu 0xfffe
	s_mul_hi_u32 s0, s28, s0
	s_wait_alu 0xfffe
	s_mul_i32 s1, s0, s34
	s_add_co_i32 s2, s0, 1
	s_wait_alu 0xfffe
	s_sub_co_i32 s1, s28, s1
	s_wait_alu 0xfffe
	s_sub_co_i32 s3, s1, s34
	s_cmp_ge_u32 s1, s34
	s_cselect_b32 s0, s2, s0
	s_wait_alu 0xfffe
	s_cselect_b32 s1, s3, s1
	s_add_co_i32 s2, s0, 1
	s_wait_alu 0xfffe
	s_cmp_ge_u32 s1, s34
	s_cselect_b32 s20, s2, s0
.LBB0_5:
	s_load_b128 s[16:19], s[10:11], 0x0
	s_load_b128 s[0:3], s[24:25], 0x0
	s_wait_kmcnt 0x0
	v_cmp_lt_u64_e64 s1, s[6:7], 3
	s_mul_u64 s[4:5], s[20:21], s[34:35]
	s_wait_alu 0xfffe
	s_sub_nc_u64 s[4:5], s[28:29], s[4:5]
	s_wait_alu 0xfffe
	s_mul_u64 s[36:37], s[4:5], 7
	s_and_b32 vcc_lo, exec_lo, s1
	s_mul_u64 s[30:31], s[18:19], s[36:37]
	s_mul_u64 s[4:5], s[2:3], s[36:37]
	s_wait_alu 0xfffe
	s_cbranch_vccnz .LBB0_15
; %bb.6:
	s_add_nc_u64 s[38:39], s[24:25], 16
	s_add_nc_u64 s[40:41], s[10:11], 16
	;; [unrolled: 1-line block ×3, first 2 shown]
	s_mov_b64 s[42:43], 2
	s_mov_b32 s44, 0
.LBB0_7:                                ; =>This Inner Loop Header: Depth=1
	s_load_b64 s[46:47], s[8:9], 0x0
                                        ; implicit-def: $sgpr50_sgpr51
	s_wait_kmcnt 0x0
	s_or_b64 s[48:49], s[20:21], s[46:47]
	s_delay_alu instid0(SALU_CYCLE_1)
	s_mov_b32 s45, s49
	s_mov_b32 s49, -1
	s_cmp_lg_u64 s[44:45], 0
	s_cbranch_scc0 .LBB0_9
; %bb.8:                                ;   in Loop: Header=BB0_7 Depth=1
	s_cvt_f32_u32 s1, s46
	s_cvt_f32_u32 s3, s47
	s_sub_nc_u64 s[52:53], 0, s[46:47]
	s_mov_b32 s49, 0
	s_mov_b32 s57, s44
	s_wait_alu 0xfffe
	s_fmamk_f32 s1, s3, 0x4f800000, s1
	s_wait_alu 0xfffe
	s_delay_alu instid0(SALU_CYCLE_2) | instskip(NEXT) | instid1(TRANS32_DEP_1)
	v_s_rcp_f32 s1, s1
	s_mul_f32 s1, s1, 0x5f7ffffc
	s_wait_alu 0xfffe
	s_delay_alu instid0(SALU_CYCLE_2) | instskip(SKIP_1) | instid1(SALU_CYCLE_2)
	s_mul_f32 s3, s1, 0x2f800000
	s_wait_alu 0xfffe
	s_trunc_f32 s3, s3
	s_wait_alu 0xfffe
	s_delay_alu instid0(SALU_CYCLE_2) | instskip(SKIP_2) | instid1(SALU_CYCLE_1)
	s_fmamk_f32 s1, s3, 0xcf800000, s1
	s_cvt_u32_f32 s51, s3
	s_wait_alu 0xfffe
	s_cvt_u32_f32 s50, s1
	s_wait_alu 0xfffe
	s_delay_alu instid0(SALU_CYCLE_2)
	s_mul_u64 s[54:55], s[52:53], s[50:51]
	s_wait_alu 0xfffe
	s_mul_hi_u32 s59, s50, s55
	s_mul_i32 s58, s50, s55
	s_mul_hi_u32 s48, s50, s54
	s_mul_i32 s3, s51, s54
	s_add_nc_u64 s[58:59], s[48:49], s[58:59]
	s_mul_hi_u32 s1, s51, s54
	s_mul_hi_u32 s17, s51, s55
	s_wait_alu 0xfffe
	s_add_co_u32 s3, s58, s3
	s_add_co_ci_u32 s56, s59, s1
	s_mul_i32 s54, s51, s55
	s_add_co_ci_u32 s55, s17, 0
	s_wait_alu 0xfffe
	s_add_nc_u64 s[54:55], s[56:57], s[54:55]
	s_wait_alu 0xfffe
	v_add_co_u32 v0, s1, s50, s54
	s_delay_alu instid0(VALU_DEP_1) | instskip(SKIP_1) | instid1(VALU_DEP_1)
	s_cmp_lg_u32 s1, 0
	s_add_co_ci_u32 s51, s51, s55
	v_readfirstlane_b32 s50, v0
	s_mov_b32 s55, s44
	s_wait_alu 0xfffe
	s_delay_alu instid0(VALU_DEP_1)
	s_mul_u64 s[52:53], s[52:53], s[50:51]
	s_wait_alu 0xfffe
	s_mul_hi_u32 s57, s50, s53
	s_mul_i32 s56, s50, s53
	s_mul_hi_u32 s48, s50, s52
	s_mul_i32 s3, s51, s52
	s_add_nc_u64 s[56:57], s[48:49], s[56:57]
	s_mul_hi_u32 s1, s51, s52
	s_mul_hi_u32 s17, s51, s53
	s_wait_alu 0xfffe
	s_add_co_u32 s3, s56, s3
	s_add_co_ci_u32 s54, s57, s1
	s_mul_i32 s52, s51, s53
	s_add_co_ci_u32 s53, s17, 0
	s_wait_alu 0xfffe
	s_add_nc_u64 s[52:53], s[54:55], s[52:53]
	s_wait_alu 0xfffe
	v_add_co_u32 v0, s1, v0, s52
	s_delay_alu instid0(VALU_DEP_1) | instskip(SKIP_1) | instid1(VALU_DEP_1)
	s_cmp_lg_u32 s1, 0
	s_add_co_ci_u32 s1, s51, s53
	v_readfirstlane_b32 s3, v0
	s_wait_alu 0xfffe
	s_mul_hi_u32 s51, s20, s1
	s_mul_i32 s50, s20, s1
	s_mul_hi_u32 s17, s21, s1
	s_mul_i32 s52, s21, s1
	;; [unrolled: 2-line block ×3, first 2 shown]
	s_wait_alu 0xfffe
	s_add_nc_u64 s[50:51], s[48:49], s[50:51]
	s_mul_hi_u32 s3, s21, s3
	s_wait_alu 0xfffe
	s_add_co_u32 s1, s50, s1
	s_add_co_ci_u32 s54, s51, s3
	s_add_co_ci_u32 s53, s17, 0
	s_wait_alu 0xfffe
	s_add_nc_u64 s[50:51], s[54:55], s[52:53]
	s_wait_alu 0xfffe
	s_mul_u64 s[52:53], s[46:47], s[50:51]
	s_add_nc_u64 s[54:55], s[50:51], 1
	s_wait_alu 0xfffe
	v_sub_co_u32 v0, s1, s20, s52
	s_sub_co_i32 s3, s21, s53
	s_cmp_lg_u32 s1, 0
	s_add_nc_u64 s[56:57], s[50:51], 2
	s_delay_alu instid0(VALU_DEP_1) | instskip(SKIP_3) | instid1(VALU_DEP_1)
	v_sub_co_u32 v1, s17, v0, s46
	s_wait_alu 0xfffe
	s_sub_co_ci_u32 s3, s3, s47
	s_cmp_lg_u32 s17, 0
	v_readfirstlane_b32 s17, v1
	s_wait_alu 0xfffe
	s_sub_co_ci_u32 s3, s3, 0
	s_wait_alu 0xfffe
	s_cmp_ge_u32 s3, s47
	s_cselect_b32 s33, -1, 0
	s_cmp_ge_u32 s17, s46
	s_cselect_b32 s17, -1, 0
	s_cmp_eq_u32 s3, s47
	s_cselect_b32 s3, s17, s33
	s_wait_alu 0xfffe
	s_cmp_lg_u32 s3, 0
	s_cselect_b32 s3, s56, s54
	s_cselect_b32 s17, s57, s55
	s_cmp_lg_u32 s1, 0
	v_readfirstlane_b32 s1, v0
	s_sub_co_ci_u32 s33, s21, s53
	s_delay_alu instid0(SALU_CYCLE_1) | instskip(SKIP_1) | instid1(VALU_DEP_1)
	s_cmp_ge_u32 s33, s47
	s_cselect_b32 s45, -1, 0
	s_cmp_ge_u32 s1, s46
	s_cselect_b32 s1, -1, 0
	s_cmp_eq_u32 s33, s47
	s_wait_alu 0xfffe
	s_cselect_b32 s1, s1, s45
	s_wait_alu 0xfffe
	s_cmp_lg_u32 s1, 0
	s_cselect_b32 s51, s17, s51
	s_cselect_b32 s50, s3, s50
.LBB0_9:                                ;   in Loop: Header=BB0_7 Depth=1
	s_and_not1_b32 vcc_lo, exec_lo, s49
	s_wait_alu 0xfffe
	s_cbranch_vccnz .LBB0_11
; %bb.10:                               ;   in Loop: Header=BB0_7 Depth=1
	v_cvt_f32_u32_e32 v0, s46
	s_sub_co_i32 s3, 0, s46
	s_mov_b32 s51, s44
	s_delay_alu instid0(VALU_DEP_1) | instskip(NEXT) | instid1(TRANS32_DEP_1)
	v_rcp_iflag_f32_e32 v0, v0
	v_mul_f32_e32 v0, 0x4f7ffffe, v0
	s_delay_alu instid0(VALU_DEP_1) | instskip(NEXT) | instid1(VALU_DEP_1)
	v_cvt_u32_f32_e32 v0, v0
	v_readfirstlane_b32 s1, v0
	s_wait_alu 0xfffe
	s_delay_alu instid0(VALU_DEP_1)
	s_mul_i32 s3, s3, s1
	s_wait_alu 0xfffe
	s_mul_hi_u32 s3, s1, s3
	s_wait_alu 0xfffe
	s_add_co_i32 s1, s1, s3
	s_wait_alu 0xfffe
	s_mul_hi_u32 s1, s20, s1
	s_wait_alu 0xfffe
	s_mul_i32 s3, s1, s46
	s_add_co_i32 s17, s1, 1
	s_wait_alu 0xfffe
	s_sub_co_i32 s3, s20, s3
	s_wait_alu 0xfffe
	s_sub_co_i32 s33, s3, s46
	s_cmp_ge_u32 s3, s46
	s_cselect_b32 s1, s17, s1
	s_cselect_b32 s3, s33, s3
	s_wait_alu 0xfffe
	s_add_co_i32 s17, s1, 1
	s_cmp_ge_u32 s3, s46
	s_cselect_b32 s50, s17, s1
.LBB0_11:                               ;   in Loop: Header=BB0_7 Depth=1
	s_load_b64 s[48:49], s[40:41], 0x0
	s_load_b64 s[52:53], s[38:39], 0x0
	s_add_nc_u64 s[42:43], s[42:43], 1
	s_mul_u64 s[34:35], s[46:47], s[34:35]
	s_wait_alu 0xfffe
	v_cmp_ge_u64_e64 s1, s[42:43], s[6:7]
	s_mul_u64 s[46:47], s[50:51], s[46:47]
	s_add_nc_u64 s[38:39], s[38:39], 8
	s_wait_alu 0xfffe
	s_sub_nc_u64 s[20:21], s[20:21], s[46:47]
	s_add_nc_u64 s[40:41], s[40:41], 8
	s_add_nc_u64 s[8:9], s[8:9], 8
	s_and_b32 vcc_lo, exec_lo, s1
	s_wait_kmcnt 0x0
	s_wait_alu 0xfffe
	s_mul_u64 s[46:47], s[48:49], s[20:21]
	s_mul_u64 s[20:21], s[52:53], s[20:21]
	s_wait_alu 0xfffe
	s_add_nc_u64 s[30:31], s[46:47], s[30:31]
	s_add_nc_u64 s[4:5], s[20:21], s[4:5]
	s_cbranch_vccnz .LBB0_13
; %bb.12:                               ;   in Loop: Header=BB0_7 Depth=1
	s_mov_b64 s[20:21], s[50:51]
	s_branch .LBB0_7
.LBB0_13:
	v_cmp_lt_u64_e64 s1, s[28:29], s[34:35]
	s_mov_b64 s[20:21], 0
	s_delay_alu instid0(VALU_DEP_1)
	s_and_b32 vcc_lo, exec_lo, s1
	s_wait_alu 0xfffe
	s_cbranch_vccnz .LBB0_15
; %bb.14:
	v_cvt_f32_u32_e32 v0, s34
	s_sub_co_i32 s3, 0, s34
	s_mov_b32 s21, 0
	s_delay_alu instid0(VALU_DEP_1) | instskip(NEXT) | instid1(TRANS32_DEP_1)
	v_rcp_iflag_f32_e32 v0, v0
	v_mul_f32_e32 v0, 0x4f7ffffe, v0
	s_delay_alu instid0(VALU_DEP_1) | instskip(NEXT) | instid1(VALU_DEP_1)
	v_cvt_u32_f32_e32 v0, v0
	v_readfirstlane_b32 s1, v0
	s_wait_alu 0xfffe
	s_delay_alu instid0(VALU_DEP_1)
	s_mul_i32 s3, s3, s1
	s_wait_alu 0xfffe
	s_mul_hi_u32 s3, s1, s3
	s_wait_alu 0xfffe
	s_add_co_i32 s1, s1, s3
	s_wait_alu 0xfffe
	s_mul_hi_u32 s1, s28, s1
	s_wait_alu 0xfffe
	s_mul_i32 s3, s1, s34
	s_add_co_i32 s5, s1, 1
	s_wait_alu 0xfffe
	s_sub_co_i32 s3, s28, s3
	s_wait_alu 0xfffe
	s_sub_co_i32 s8, s3, s34
	s_cmp_ge_u32 s3, s34
	s_cselect_b32 s1, s5, s1
	s_cselect_b32 s3, s8, s3
	s_wait_alu 0xfffe
	s_add_co_i32 s5, s1, 1
	s_cmp_ge_u32 s3, s34
	s_wait_alu 0xfffe
	s_cselect_b32 s20, s5, s1
.LBB0_15:
	v_mul_hi_u32 v73, 0x24924925, v9
	s_lshl_b64 s[6:7], s[6:7], 3
	v_mov_b32_e32 v7, 0
	s_wait_alu 0xfffe
	s_add_nc_u64 s[8:9], s[10:11], s[6:7]
	s_add_nc_u64 s[10:11], s[36:37], 7
	s_load_b64 s[8:9], s[8:9], 0x0
	s_delay_alu instid0(VALU_DEP_2) | instskip(NEXT) | instid1(VALU_DEP_1)
	v_mul_u32_u24_e32 v0, 7, v73
	v_sub_nc_u32_e32 v0, v9, v0
	s_clause 0x1
	scratch_store_b32 off, v9, off offset:220
	scratch_store_b32 off, v0, off
	v_mad_co_u64_u32 v[71:72], null, s18, v0, 0
	v_add_co_u32 v69, s1, s36, v0
	s_wait_alu 0xf1ff
	v_add_co_ci_u32_e64 v70, null, s37, 0, s1
	v_mov_b32_e32 v8, 0
	v_cmp_le_u64_e64 s1, s[10:11], s[26:27]
	v_mov_b32_e32 v1, v72
	s_delay_alu instid0(VALU_DEP_4) | instskip(SKIP_2) | instid1(VALU_DEP_4)
	v_cmp_gt_u64_e32 vcc_lo, s[26:27], v[69:70]
	v_mov_b32_e32 v3, v7
	v_dual_mov_b32 v5, 0 :: v_dual_mov_b32 v4, v8
	v_mad_co_u64_u32 v[1:2], null, s19, v0, v[1:2]
	v_dual_mov_b32 v1, v7 :: v_dual_mov_b32 v2, v8
	s_wait_kmcnt 0x0
	s_mul_u64 s[8:9], s[8:9], s[20:21]
	s_or_b32 s1, s1, vcc_lo
	s_add_nc_u64 s[8:9], s[8:9], s[30:31]
	s_wait_alu 0xfffe
	s_and_saveexec_b32 s3, s1
	s_cbranch_execz .LBB0_17
; %bb.16:
	v_mul_lo_u32 v0, s16, v73
	s_delay_alu instid0(VALU_DEP_1) | instskip(NEXT) | instid1(VALU_DEP_1)
	v_add3_u32 v4, s8, v71, v0
	v_lshlrev_b64_e32 v[1:2], 4, v[4:5]
	s_delay_alu instid0(VALU_DEP_1) | instskip(SKIP_1) | instid1(VALU_DEP_2)
	v_add_co_u32 v1, vcc_lo, s12, v1
	s_wait_alu 0xfffd
	v_add_co_ci_u32_e32 v2, vcc_lo, s13, v2, vcc_lo
	global_load_b128 v[1:4], v[1:2], off
.LBB0_17:
	s_wait_alu 0xfffe
	s_or_b32 exec_lo, exec_lo, s3
	v_dual_mov_b32 v5, v7 :: v_dual_mov_b32 v6, v8
	s_and_saveexec_b32 s3, s1
	s_cbranch_execz .LBB0_19
; %bb.18:
	v_add_nc_u32_e32 v0, 17, v73
	v_mov_b32_e32 v6, 0
	s_delay_alu instid0(VALU_DEP_2) | instskip(NEXT) | instid1(VALU_DEP_1)
	v_mul_lo_u32 v0, s16, v0
	v_add3_u32 v5, s8, v71, v0
	s_delay_alu instid0(VALU_DEP_1) | instskip(NEXT) | instid1(VALU_DEP_1)
	v_lshlrev_b64_e32 v[5:6], 4, v[5:6]
	v_add_co_u32 v5, vcc_lo, s12, v5
	s_wait_alu 0xfffd
	s_delay_alu instid0(VALU_DEP_2)
	v_add_co_ci_u32_e32 v6, vcc_lo, s13, v6, vcc_lo
	global_load_b128 v[5:8], v[5:6], off
.LBB0_19:
	s_wait_alu 0xfffe
	s_or_b32 exec_lo, exec_lo, s3
	v_mov_b32_e32 v15, 0
	v_mov_b32_e32 v16, 0
	s_delay_alu instid0(VALU_DEP_2) | instskip(NEXT) | instid1(VALU_DEP_2)
	v_mov_b32_e32 v11, v15
	v_dual_mov_b32 v9, v15 :: v_dual_mov_b32 v10, v16
	v_mov_b32_e32 v12, v16
	s_and_saveexec_b32 s3, s1
	s_cbranch_execz .LBB0_21
; %bb.20:
	v_add_nc_u32_e32 v0, 34, v73
	v_mov_b32_e32 v10, 0
	s_delay_alu instid0(VALU_DEP_2) | instskip(NEXT) | instid1(VALU_DEP_1)
	v_mul_lo_u32 v0, s16, v0
	v_add3_u32 v9, s8, v71, v0
	s_delay_alu instid0(VALU_DEP_1) | instskip(NEXT) | instid1(VALU_DEP_1)
	v_lshlrev_b64_e32 v[9:10], 4, v[9:10]
	v_add_co_u32 v9, vcc_lo, s12, v9
	s_wait_alu 0xfffd
	s_delay_alu instid0(VALU_DEP_2)
	v_add_co_ci_u32_e32 v10, vcc_lo, s13, v10, vcc_lo
	global_load_b128 v[9:12], v[9:10], off
.LBB0_21:
	s_wait_alu 0xfffe
	s_or_b32 exec_lo, exec_lo, s3
	v_dual_mov_b32 v13, v15 :: v_dual_mov_b32 v14, v16
	s_and_saveexec_b32 s3, s1
	s_cbranch_execz .LBB0_23
; %bb.22:
	v_add_nc_u32_e32 v0, 51, v73
	v_mov_b32_e32 v14, 0
	s_delay_alu instid0(VALU_DEP_2) | instskip(NEXT) | instid1(VALU_DEP_1)
	v_mul_lo_u32 v0, s16, v0
	v_add3_u32 v13, s8, v71, v0
	s_delay_alu instid0(VALU_DEP_1) | instskip(NEXT) | instid1(VALU_DEP_1)
	v_lshlrev_b64_e32 v[13:14], 4, v[13:14]
	v_add_co_u32 v13, vcc_lo, s12, v13
	s_wait_alu 0xfffd
	s_delay_alu instid0(VALU_DEP_2)
	v_add_co_ci_u32_e32 v14, vcc_lo, s13, v14, vcc_lo
	global_load_b128 v[13:16], v[13:14], off
.LBB0_23:
	s_wait_alu 0xfffe
	s_or_b32 exec_lo, exec_lo, s3
	v_mov_b32_e32 v23, 0
	v_mov_b32_e32 v24, 0
	s_delay_alu instid0(VALU_DEP_2) | instskip(NEXT) | instid1(VALU_DEP_2)
	v_mov_b32_e32 v19, v23
	v_dual_mov_b32 v17, v23 :: v_dual_mov_b32 v18, v24
	v_mov_b32_e32 v20, v24
	s_and_saveexec_b32 s3, s1
	s_cbranch_execz .LBB0_25
; %bb.24:
	v_add_nc_u32_e32 v0, 0x44, v73
	v_mov_b32_e32 v18, 0
	s_delay_alu instid0(VALU_DEP_2) | instskip(NEXT) | instid1(VALU_DEP_1)
	v_mul_lo_u32 v0, s16, v0
	v_add3_u32 v17, s8, v71, v0
	s_delay_alu instid0(VALU_DEP_1) | instskip(NEXT) | instid1(VALU_DEP_1)
	v_lshlrev_b64_e32 v[17:18], 4, v[17:18]
	v_add_co_u32 v17, vcc_lo, s12, v17
	s_wait_alu 0xfffd
	s_delay_alu instid0(VALU_DEP_2)
	v_add_co_ci_u32_e32 v18, vcc_lo, s13, v18, vcc_lo
	global_load_b128 v[17:20], v[17:18], off
.LBB0_25:
	;; [unrolled: 43-line block ×3, first 2 shown]
	s_wait_alu 0xfffe
	s_or_b32 exec_lo, exec_lo, s3
	v_dual_mov_b32 v29, v31 :: v_dual_mov_b32 v30, v32
	s_and_saveexec_b32 s3, s1
	s_cbranch_execz .LBB0_31
; %bb.30:
	v_add_nc_u32_e32 v0, 0x77, v73
	v_mov_b32_e32 v30, 0
	s_delay_alu instid0(VALU_DEP_2) | instskip(NEXT) | instid1(VALU_DEP_1)
	v_mul_lo_u32 v0, s16, v0
	v_add3_u32 v29, s8, v71, v0
	s_delay_alu instid0(VALU_DEP_1) | instskip(NEXT) | instid1(VALU_DEP_1)
	v_lshlrev_b64_e32 v[29:30], 4, v[29:30]
	v_add_co_u32 v29, vcc_lo, s12, v29
	s_wait_alu 0xfffd
	s_delay_alu instid0(VALU_DEP_2)
	v_add_co_ci_u32_e32 v30, vcc_lo, s13, v30, vcc_lo
	global_load_b128 v[29:32], v[29:30], off
.LBB0_31:
	s_wait_alu 0xfffe
	s_or_b32 exec_lo, exec_lo, s3
	v_mov_b32_e32 v35, 0
	v_mov_b32_e32 v36, 0
	s_delay_alu instid0(VALU_DEP_1)
	v_dual_mov_b32 v40, v36 :: v_dual_mov_b32 v39, v35
	v_dual_mov_b32 v38, v36 :: v_dual_mov_b32 v37, v35
	s_and_saveexec_b32 s3, s1
	s_cbranch_execz .LBB0_33
; %bb.32:
	v_add_nc_u32_e32 v0, 0x88, v73
	v_mov_b32_e32 v34, 0
	s_delay_alu instid0(VALU_DEP_2) | instskip(NEXT) | instid1(VALU_DEP_1)
	v_mul_lo_u32 v0, s16, v0
	v_add3_u32 v33, s8, v71, v0
	s_delay_alu instid0(VALU_DEP_1) | instskip(NEXT) | instid1(VALU_DEP_1)
	v_lshlrev_b64_e32 v[33:34], 4, v[33:34]
	v_add_co_u32 v33, vcc_lo, s12, v33
	s_wait_alu 0xfffd
	s_delay_alu instid0(VALU_DEP_2)
	v_add_co_ci_u32_e32 v34, vcc_lo, s13, v34, vcc_lo
	global_load_b128 v[37:40], v[33:34], off
.LBB0_33:
	s_wait_alu 0xfffe
	s_or_b32 exec_lo, exec_lo, s3
	v_dual_mov_b32 v33, v35 :: v_dual_mov_b32 v34, v36
	s_and_saveexec_b32 s3, s1
	s_cbranch_execz .LBB0_35
; %bb.34:
	v_add_nc_u32_e32 v0, 0x99, v73
	v_mov_b32_e32 v34, 0
	s_delay_alu instid0(VALU_DEP_2) | instskip(NEXT) | instid1(VALU_DEP_1)
	v_mul_lo_u32 v0, s16, v0
	v_add3_u32 v33, s8, v71, v0
	s_delay_alu instid0(VALU_DEP_1) | instskip(NEXT) | instid1(VALU_DEP_1)
	v_lshlrev_b64_e32 v[33:34], 4, v[33:34]
	v_add_co_u32 v33, vcc_lo, s12, v33
	s_wait_alu 0xfffd
	s_delay_alu instid0(VALU_DEP_2)
	v_add_co_ci_u32_e32 v34, vcc_lo, s13, v34, vcc_lo
	global_load_b128 v[33:36], v[33:34], off
.LBB0_35:
	s_wait_alu 0xfffe
	s_or_b32 exec_lo, exec_lo, s3
	v_mov_b32_e32 v43, 0
	v_mov_b32_e32 v44, 0
	s_delay_alu instid0(VALU_DEP_1)
	v_dual_mov_b32 v48, v44 :: v_dual_mov_b32 v47, v43
	v_dual_mov_b32 v46, v44 :: v_dual_mov_b32 v45, v43
	s_and_saveexec_b32 s3, s1
	s_cbranch_execz .LBB0_37
; %bb.36:
	v_add_nc_u32_e32 v0, 0xaa, v73
	v_mov_b32_e32 v42, 0
	s_delay_alu instid0(VALU_DEP_2) | instskip(NEXT) | instid1(VALU_DEP_1)
	v_mul_lo_u32 v0, s16, v0
	v_add3_u32 v41, s8, v71, v0
	s_delay_alu instid0(VALU_DEP_1) | instskip(NEXT) | instid1(VALU_DEP_1)
	v_lshlrev_b64_e32 v[41:42], 4, v[41:42]
	v_add_co_u32 v41, vcc_lo, s12, v41
	s_wait_alu 0xfffd
	s_delay_alu instid0(VALU_DEP_2)
	v_add_co_ci_u32_e32 v42, vcc_lo, s13, v42, vcc_lo
	global_load_b128 v[45:48], v[41:42], off
.LBB0_37:
	;; [unrolled: 42-line block ×4, first 2 shown]
	s_wait_alu 0xfffe
	s_or_b32 exec_lo, exec_lo, s3
	v_dual_mov_b32 v57, v59 :: v_dual_mov_b32 v58, v60
	s_and_saveexec_b32 s3, s1
	s_cbranch_execz .LBB0_47
; %bb.46:
	v_add_nc_u32_e32 v0, 0xff, v73
	v_mov_b32_e32 v58, 0
	s_delay_alu instid0(VALU_DEP_2) | instskip(NEXT) | instid1(VALU_DEP_1)
	v_mul_lo_u32 v0, s16, v0
	v_add3_u32 v57, s8, v71, v0
	s_delay_alu instid0(VALU_DEP_1) | instskip(NEXT) | instid1(VALU_DEP_1)
	v_lshlrev_b64_e32 v[57:58], 4, v[57:58]
	v_add_co_u32 v57, vcc_lo, s12, v57
	s_wait_alu 0xfffd
	s_delay_alu instid0(VALU_DEP_2)
	v_add_co_ci_u32_e32 v58, vcc_lo, s13, v58, vcc_lo
	global_load_b128 v[57:60], v[57:58], off
.LBB0_47:
	s_wait_alu 0xfffe
	s_or_b32 exec_lo, exec_lo, s3
	v_mov_b32_e32 v67, 0
	v_mov_b32_e32 v68, 0
	s_delay_alu instid0(VALU_DEP_2) | instskip(SKIP_1) | instid1(VALU_DEP_2)
	v_mov_b32_e32 v65, v67
	s_add_nc_u64 s[62:63], s[24:25], s[6:7]
	v_mov_b32_e32 v66, v68
	s_and_saveexec_b32 s3, s1
	s_cbranch_execz .LBB0_49
; %bb.48:
	v_add_nc_u32_e32 v0, 0x110, v73
	v_mov_b32_e32 v66, 0
	s_delay_alu instid0(VALU_DEP_2) | instskip(NEXT) | instid1(VALU_DEP_1)
	v_mul_lo_u32 v0, s16, v0
	v_add3_u32 v65, s8, v71, v0
	s_delay_alu instid0(VALU_DEP_1) | instskip(NEXT) | instid1(VALU_DEP_1)
	v_lshlrev_b64_e32 v[65:66], 4, v[65:66]
	v_add_co_u32 v65, vcc_lo, s12, v65
	s_wait_alu 0xfffd
	s_delay_alu instid0(VALU_DEP_2)
	v_add_co_ci_u32_e32 v66, vcc_lo, s13, v66, vcc_lo
	global_load_b128 v[65:68], v[65:66], off
.LBB0_49:
	s_wait_alu 0xfffe
	s_or_b32 exec_lo, exec_lo, s3
	s_wait_loadcnt 0x0
	v_add_f64_e32 v[70:71], v[1:2], v[5:6]
	scratch_store_b32 off, v73, off offset:4 ; 4-byte Folded Spill
	v_add_f64_e32 v[72:73], v[3:4], v[7:8]
	v_add_f64_e64 v[130:131], v[37:38], -v[33:34]
	v_add_f64_e64 v[132:133], v[39:40], -v[35:36]
	;; [unrolled: 1-line block ×14, first 2 shown]
	s_mov_b32 s38, 0x5d8e7cdc
	s_mov_b32 s42, 0x2a9d6da3
	;; [unrolled: 1-line block ×21, first 2 shown]
	v_add_f64_e32 v[70:71], v[70:71], v[9:10]
	s_mov_b32 s24, 0x6ed5f1bb
	v_add_f64_e32 v[72:73], v[72:73], v[11:12]
	s_mov_b32 s6, 0x910ea3b9
	s_mov_b32 s18, 0x7faef3
	;; [unrolled: 1-line block ×10, first 2 shown]
	s_wait_alu 0xfffe
	v_mul_f64_e32 v[110:111], s[36:37], v[168:169]
	v_mul_f64_e32 v[112:113], s[36:37], v[158:159]
	s_mov_b32 s57, 0x3fe0d888
	s_mov_b32 s56, s34
	;; [unrolled: 1-line block ×3, first 2 shown]
	v_mul_f64_e32 v[114:115], s[56:57], v[148:149]
	v_mul_f64_e32 v[116:117], s[56:57], v[142:143]
	s_mov_b32 s52, s28
	s_mov_b32 s47, 0x3feca52d
	s_wait_alu 0xfffe
	v_mul_f64_e32 v[118:119], s[52:53], v[140:141]
	v_mul_f64_e32 v[120:121], s[52:53], v[138:139]
	s_mov_b32 s46, s44
	s_mov_b32 s49, 0x3fd71e95
	s_wait_alu 0xfffe
	v_mul_f64_e32 v[122:123], s[46:47], v[136:137]
	v_mul_f64_e32 v[124:125], s[46:47], v[134:135]
	s_mov_b32 s48, s38
	v_mul_f64_e32 v[144:145], s[30:31], v[188:189]
	v_mul_f64_e32 v[126:127], s[48:49], v[132:133]
	;; [unrolled: 1-line block ×3, first 2 shown]
	s_mov_b32 s61, 0x3fc7851a
	s_mov_b32 s60, s36
	v_mul_f64_e32 v[154:155], s[52:53], v[168:169]
	v_mul_f64_e32 v[152:153], s[60:61], v[174:175]
	;; [unrolled: 1-line block ×3, first 2 shown]
	s_mov_b32 s51, 0x3fe58eea
	v_add_f64_e32 v[70:71], v[70:71], v[13:14]
	s_mov_b32 s50, s42
	v_add_f64_e32 v[72:73], v[72:73], v[15:16]
	s_wait_alu 0xfffe
	v_mul_f64_e32 v[160:161], s[50:51], v[148:149]
	v_mul_f64_e32 v[162:163], s[50:51], v[142:143]
	;; [unrolled: 1-line block ×18, first 2 shown]
	s_mov_b32 s59, 0x3fe9895b
	s_mov_b32 s58, s30
	v_mul_f64_e32 v[240:241], s[50:51], v[132:133]
	v_mul_f64_e32 v[236:237], s[58:59], v[136:137]
	;; [unrolled: 1-line block ×10, first 2 shown]
	s_mov_b32 s55, 0x3fefdd0d
	s_mov_b32 s54, s40
	v_add_f64_e32 v[70:71], v[70:71], v[17:18]
	v_add_f64_e32 v[72:73], v[72:73], v[19:20]
	s_delay_alu instid0(VALU_DEP_2) | instskip(NEXT) | instid1(VALU_DEP_2)
	v_add_f64_e32 v[70:71], v[70:71], v[21:22]
	v_add_f64_e32 v[72:73], v[72:73], v[23:24]
	s_delay_alu instid0(VALU_DEP_2) | instskip(NEXT) | instid1(VALU_DEP_2)
	;; [unrolled: 3-line block ×3, first 2 shown]
	v_add_f64_e32 v[70:71], v[70:71], v[29:30]
	v_add_f64_e32 v[72:73], v[72:73], v[31:32]
	s_delay_alu instid0(VALU_DEP_2) | instskip(SKIP_1) | instid1(VALU_DEP_3)
	v_add_f64_e32 v[74:75], v[70:71], v[37:38]
	v_add_f64_e32 v[70:71], v[37:38], v[33:34]
	;; [unrolled: 1-line block ×4, first 2 shown]
	s_delay_alu instid0(VALU_DEP_4) | instskip(SKIP_1) | instid1(VALU_DEP_4)
	v_add_f64_e32 v[37:38], v[74:75], v[33:34]
	v_add_f64_e32 v[33:34], v[29:30], v[45:46]
	;; [unrolled: 1-line block ×10, first 2 shown]
	s_delay_alu instid0(VALU_DEP_4) | instskip(SKIP_1) | instid1(VALU_DEP_4)
	v_add_f64_e32 v[25:26], v[37:38], v[41:42]
	v_add_f64_e32 v[37:38], v[21:22], v[53:54]
	;; [unrolled: 1-line block ×8, first 2 shown]
	s_delay_alu instid0(VALU_DEP_2) | instskip(SKIP_1) | instid1(VALU_DEP_3)
	v_add_f64_e32 v[17:18], v[21:22], v[49:50]
	v_add_f64_e32 v[49:50], v[9:10], v[57:58]
	v_add_f64_e32 v[19:20], v[23:24], v[51:52]
	v_add_f64_e32 v[51:52], v[11:12], v[59:60]
	s_delay_alu instid0(VALU_DEP_4) | instskip(SKIP_1) | instid1(VALU_DEP_4)
	v_add_f64_e32 v[13:14], v[17:18], v[61:62]
	v_add_f64_e32 v[17:18], v[7:8], v[67:68]
	;; [unrolled: 1-line block ×3, first 2 shown]
	v_add_f64_e64 v[19:20], v[5:6], -v[65:66]
	s_delay_alu instid0(VALU_DEP_4) | instskip(SKIP_1) | instid1(VALU_DEP_4)
	v_add_f64_e32 v[9:10], v[13:14], v[57:58]
	v_add_f64_e64 v[13:14], v[7:8], -v[67:68]
	v_add_f64_e32 v[11:12], v[15:16], v[59:60]
	v_add_f64_e32 v[15:16], v[5:6], v[65:66]
	v_mul_f64_e32 v[61:62], s[44:45], v[19:20]
	v_mul_f64_e32 v[80:81], s[40:41], v[19:20]
	;; [unrolled: 1-line block ×5, first 2 shown]
	v_add_f64_e32 v[182:183], v[9:10], v[65:66]
	v_mul_f64_e32 v[9:10], s[38:39], v[13:14]
	v_add_f64_e32 v[184:185], v[11:12], v[67:68]
	v_mul_f64_e32 v[11:12], s[42:43], v[13:14]
	v_mul_f64_e32 v[21:22], s[44:45], v[13:14]
	;; [unrolled: 1-line block ×7, first 2 shown]
	v_fma_f64 v[98:99], v[17:18], s[26:27], v[61:62]
	v_fma_f64 v[100:101], v[17:18], s[8:9], -v[80:81]
	v_fma_f64 v[80:81], v[17:18], s[8:9], v[80:81]
	v_fma_f64 v[94:95], v[17:18], s[26:27], -v[61:62]
	v_fma_f64 v[102:103], v[17:18], s[16:17], -v[82:83]
	v_fma_f64 v[82:83], v[17:18], s[16:17], v[82:83]
	v_fma_f64 v[104:105], v[17:18], s[24:25], -v[84:85]
	v_fma_f64 v[84:85], v[17:18], s[24:25], v[84:85]
	;; [unrolled: 2-line block ×3, first 2 shown]
	v_mul_f64_e32 v[61:62], s[38:39], v[136:137]
	v_fma_f64 v[55:56], v[15:16], s[10:11], v[9:10]
	v_fma_f64 v[9:10], v[15:16], s[10:11], -v[9:10]
	v_fma_f64 v[57:58], v[15:16], s[12:13], v[11:12]
	v_fma_f64 v[11:12], v[15:16], s[12:13], -v[11:12]
	;; [unrolled: 2-line block ×8, first 2 shown]
	v_mul_f64_e32 v[15:16], s[38:39], v[19:20]
	v_mul_f64_e32 v[53:54], s[42:43], v[19:20]
	;; [unrolled: 1-line block ×3, first 2 shown]
	v_add_f64_e32 v[150:151], v[3:4], v[94:95]
	v_add_f64_e32 v[190:191], v[3:4], v[100:101]
	;; [unrolled: 1-line block ×7, first 2 shown]
	v_mul_f64_e32 v[102:103], s[40:41], v[188:189]
	v_mul_f64_e32 v[104:105], s[40:41], v[186:187]
	v_add_f64_e32 v[5:6], v[1:2], v[9:10]
	v_add_f64_e32 v[9:10], v[1:2], v[57:58]
	s_wait_alu 0xfffe
	v_mul_f64_e32 v[57:58], s[54:55], v[140:141]
	v_add_f64_e32 v[146:147], v[1:2], v[59:60]
	v_mul_f64_e32 v[59:60], s[54:55], v[138:139]
	v_add_f64_e32 v[100:101], v[1:2], v[25:26]
	v_add_f64_e32 v[25:26], v[1:2], v[67:68]
	;; [unrolled: 1-line block ×7, first 2 shown]
	v_fma_f64 v[88:89], v[17:18], s[10:11], -v[15:16]
	v_fma_f64 v[15:16], v[17:18], s[10:11], v[15:16]
	v_fma_f64 v[92:93], v[17:18], s[12:13], v[53:54]
	v_fma_f64 v[90:91], v[17:18], s[12:13], -v[53:54]
	v_fma_f64 v[108:109], v[17:18], s[18:19], -v[19:20]
	v_fma_f64 v[17:18], v[17:18], s[18:19], v[19:20]
	v_add_f64_e32 v[19:20], v[1:2], v[55:56]
	v_mul_f64_e32 v[67:68], s[34:35], v[136:137]
	v_mul_f64_e32 v[74:75], s[30:31], v[176:177]
	;; [unrolled: 1-line block ×3, first 2 shown]
	v_fma_f64 v[27:28], v[45:46], s[12:13], v[248:249]
	v_mul_f64_e32 v[53:54], s[36:37], v[148:149]
	v_mul_f64_e32 v[55:56], s[36:37], v[142:143]
	scratch_store_b64 off, v[5:6], off offset:20 ; 8-byte Folded Spill
	v_add_f64_e32 v[88:89], v[3:4], v[88:89]
	v_add_f64_e32 v[5:6], v[3:4], v[15:16]
	;; [unrolled: 1-line block ×5, first 2 shown]
	v_mul_f64_e32 v[90:91], s[36:37], v[132:133]
	v_fma_f64 v[13:14], v[45:46], s[24:25], v[74:75]
	scratch_store_b64 off, v[5:6], off offset:36 ; 8-byte Folded Spill
	v_add_f64_e32 v[5:6], v[1:2], v[11:12]
	scratch_store_b64 off, v[5:6], off offset:68 ; 8-byte Folded Spill
	v_add_f64_e32 v[5:6], v[3:4], v[92:93]
	v_mul_f64_e32 v[92:93], s[36:37], v[130:131]
	scratch_store_b64 off, v[5:6], off offset:52 ; 8-byte Folded Spill
	v_add_f64_e32 v[5:6], v[1:2], v[21:22]
	v_add_f64_e32 v[21:22], v[1:2], v[63:64]
	v_mul_f64_e32 v[63:64], s[30:31], v[132:133]
	scratch_store_b64 off, v[5:6], off offset:188 ; 8-byte Folded Spill
	v_add_f64_e32 v[5:6], v[3:4], v[98:99]
	scratch_store_b64 off, v[5:6], off offset:180 ; 8-byte Folded Spill
	v_add_f64_e32 v[5:6], v[1:2], v[23:24]
	v_add_f64_e32 v[23:24], v[1:2], v[65:66]
	v_mul_f64_e32 v[0:1], s[42:43], v[188:189]
	v_mul_f64_e32 v[65:66], s[38:39], v[134:135]
	scratch_store_b64 off, v[5:6], off offset:204 ; 8-byte Folded Spill
	v_add_f64_e32 v[5:6], v[3:4], v[80:81]
	scratch_store_b64 off, v[5:6], off offset:196 ; 8-byte Folded Spill
	v_add_f64_e32 v[5:6], v[3:4], v[82:83]
	v_mul_f64_e32 v[3:4], s[42:43], v[186:187]
	scratch_store_b64 off, v[0:1], off offset:84 ; 8-byte Folded Spill
	v_fma_f64 v[1:2], v[49:50], s[12:13], v[0:1]
	scratch_store_b64 off, v[5:6], off offset:212 ; 8-byte Folded Spill
	v_mul_f64_e32 v[5:6], s[44:45], v[176:177]
	scratch_store_b64 off, v[3:4], off offset:100 ; 8-byte Folded Spill
	v_add_f64_e32 v[1:2], v[1:2], v[19:20]
	v_fma_f64 v[3:4], v[51:52], s[12:13], -v[3:4]
	v_fma_f64 v[19:20], v[51:52], s[18:19], -v[218:219]
	scratch_store_b64 off, v[5:6], off offset:108 ; 8-byte Folded Spill
	v_fma_f64 v[11:12], v[45:46], s[26:27], v[5:6]
	v_mul_f64_e32 v[5:6], s[44:45], v[174:175]
	v_add_f64_e32 v[3:4], v[3:4], v[88:89]
	v_add_f64_e32 v[19:20], v[19:20], v[190:191]
	v_mul_f64_e32 v[190:191], s[52:53], v[186:187]
	v_add_f64_e32 v[1:2], v[11:12], v[1:2]
	scratch_store_b64 off, v[5:6], off offset:116 ; 8-byte Folded Spill
	v_fma_f64 v[11:12], v[47:48], s[26:27], -v[5:6]
	v_mul_f64_e32 v[5:6], s[40:41], v[168:169]
	s_delay_alu instid0(VALU_DEP_2) | instskip(SKIP_3) | instid1(VALU_DEP_2)
	v_add_f64_e32 v[3:4], v[11:12], v[3:4]
	scratch_store_b64 off, v[5:6], off offset:124 ; 8-byte Folded Spill
	v_fma_f64 v[11:12], v[41:42], s[8:9], v[5:6]
	v_mul_f64_e32 v[5:6], s[40:41], v[158:159]
	v_add_f64_e32 v[1:2], v[11:12], v[1:2]
	scratch_store_b64 off, v[5:6], off offset:132 ; 8-byte Folded Spill
	v_fma_f64 v[11:12], v[43:44], s[8:9], -v[5:6]
	v_mul_f64_e32 v[5:6], s[28:29], v[148:149]
	s_delay_alu instid0(VALU_DEP_2) | instskip(SKIP_3) | instid1(VALU_DEP_2)
	v_add_f64_e32 v[3:4], v[11:12], v[3:4]
	scratch_store_b64 off, v[5:6], off offset:140 ; 8-byte Folded Spill
	v_fma_f64 v[11:12], v[37:38], s[16:17], v[5:6]
	;; [unrolled: 9-line block ×3, first 2 shown]
	v_mul_f64_e32 v[5:6], s[30:31], v[138:139]
	v_add_f64_e32 v[1:2], v[11:12], v[1:2]
	s_delay_alu instid0(VALU_DEP_2)
	v_fma_f64 v[11:12], v[31:32], s[24:25], -v[5:6]
	scratch_store_b64 off, v[5:6], off offset:164 ; 8-byte Folded Spill
	v_mul_f64_e32 v[5:6], s[34:35], v[134:135]
	v_add_f64_e32 v[3:4], v[11:12], v[3:4]
	v_fma_f64 v[11:12], v[33:34], s[6:7], v[67:68]
	scratch_store_b64 off, v[5:6], off offset:172 ; 8-byte Folded Spill
	v_add_f64_e32 v[1:2], v[11:12], v[1:2]
	v_fma_f64 v[11:12], v[35:36], s[6:7], -v[5:6]
	v_mul_f64_e32 v[6:7], s[42:43], v[138:139]
	s_delay_alu instid0(VALU_DEP_2) | instskip(SKIP_1) | instid1(VALU_DEP_1)
	v_add_f64_e32 v[3:4], v[11:12], v[3:4]
	v_fma_f64 v[11:12], v[70:71], s[18:19], v[90:91]
	v_add_f64_e32 v[106:107], v[11:12], v[1:2]
	v_fma_f64 v[11:12], v[72:73], s[18:19], -v[92:93]
	v_mul_f64_e32 v[0:1], s[46:47], v[132:133]
	s_delay_alu instid0(VALU_DEP_2) | instskip(SKIP_3) | instid1(VALU_DEP_3)
	v_add_f64_e32 v[108:109], v[11:12], v[3:4]
	v_fma_f64 v[11:12], v[49:50], s[8:9], v[102:103]
	v_mul_f64_e32 v[4:5], s[36:37], v[136:137]
	v_mul_f64_e32 v[2:3], s[36:37], v[134:135]
	v_add_f64_e32 v[9:10], v[11:12], v[9:10]
	v_fma_f64 v[11:12], v[51:52], s[8:9], -v[104:105]
	s_delay_alu instid0(VALU_DEP_2) | instskip(NEXT) | instid1(VALU_DEP_2)
	v_add_f64_e32 v[9:10], v[13:14], v[9:10]
	v_add_f64_e32 v[11:12], v[11:12], v[15:16]
	v_fma_f64 v[13:14], v[47:48], s[24:25], -v[76:77]
	s_delay_alu instid0(VALU_DEP_1) | instskip(SKIP_1) | instid1(VALU_DEP_1)
	v_add_f64_e32 v[11:12], v[13:14], v[11:12]
	v_fma_f64 v[13:14], v[41:42], s[18:19], v[110:111]
	v_add_f64_e32 v[9:10], v[13:14], v[9:10]
	v_fma_f64 v[13:14], v[43:44], s[18:19], -v[112:113]
	s_delay_alu instid0(VALU_DEP_1) | instskip(SKIP_1) | instid1(VALU_DEP_1)
	v_add_f64_e32 v[11:12], v[13:14], v[11:12]
	v_fma_f64 v[13:14], v[37:38], s[6:7], v[114:115]
	;; [unrolled: 5-line block ×5, first 2 shown]
	v_add_f64_e32 v[86:87], v[13:14], v[9:10]
	v_fma_f64 v[13:14], v[72:73], s[10:11], -v[128:129]
	v_mul_f64_e32 v[8:9], s[42:43], v[140:141]
	s_delay_alu instid0(VALU_DEP_2) | instskip(SKIP_2) | instid1(VALU_DEP_2)
	v_add_f64_e32 v[88:89], v[13:14], v[11:12]
	v_fma_f64 v[13:14], v[49:50], s[24:25], v[144:145]
	v_fma_f64 v[10:11], v[33:34], s[10:11], v[61:62]
	v_add_f64_e32 v[13:14], v[13:14], v[146:147]
	v_mul_f64_e32 v[146:147], s[30:31], v[186:187]
	s_delay_alu instid0(VALU_DEP_1) | instskip(NEXT) | instid1(VALU_DEP_1)
	v_fma_f64 v[15:16], v[51:52], s[24:25], -v[146:147]
	v_add_f64_e32 v[15:16], v[15:16], v[150:151]
	v_mul_f64_e32 v[150:151], s[60:61], v[176:177]
	s_delay_alu instid0(VALU_DEP_1) | instskip(NEXT) | instid1(VALU_DEP_1)
	v_fma_f64 v[17:18], v[45:46], s[18:19], v[150:151]
	v_add_f64_e32 v[13:14], v[17:18], v[13:14]
	v_fma_f64 v[17:18], v[47:48], s[18:19], -v[152:153]
	s_delay_alu instid0(VALU_DEP_1) | instskip(SKIP_1) | instid1(VALU_DEP_1)
	v_add_f64_e32 v[15:16], v[17:18], v[15:16]
	v_fma_f64 v[17:18], v[41:42], s[16:17], v[154:155]
	v_add_f64_e32 v[13:14], v[17:18], v[13:14]
	v_fma_f64 v[17:18], v[43:44], s[16:17], -v[156:157]
	s_delay_alu instid0(VALU_DEP_1) | instskip(SKIP_1) | instid1(VALU_DEP_1)
	v_add_f64_e32 v[15:16], v[17:18], v[15:16]
	;; [unrolled: 5-line block ×5, first 2 shown]
	v_fma_f64 v[17:18], v[70:71], s[6:7], v[178:179]
	v_add_f64_e32 v[82:83], v[17:18], v[13:14]
	v_fma_f64 v[17:18], v[72:73], s[6:7], -v[180:181]
	v_mul_f64_e32 v[12:13], s[54:55], v[148:149]
	s_delay_alu instid0(VALU_DEP_2) | instskip(SKIP_2) | instid1(VALU_DEP_2)
	v_add_f64_e32 v[84:85], v[17:18], v[15:16]
	v_fma_f64 v[17:18], v[49:50], s[18:19], v[216:217]
	v_fma_f64 v[14:15], v[35:36], s[10:11], -v[65:66]
	v_add_f64_e32 v[17:18], v[17:18], v[21:22]
	v_fma_f64 v[21:22], v[45:46], s[16:17], v[220:221]
	s_delay_alu instid0(VALU_DEP_1) | instskip(SKIP_1) | instid1(VALU_DEP_1)
	v_add_f64_e32 v[17:18], v[21:22], v[17:18]
	v_fma_f64 v[21:22], v[47:48], s[16:17], -v[222:223]
	v_add_f64_e32 v[19:20], v[21:22], v[19:20]
	v_fma_f64 v[21:22], v[41:42], s[10:11], v[224:225]
	s_delay_alu instid0(VALU_DEP_1) | instskip(SKIP_1) | instid1(VALU_DEP_1)
	v_add_f64_e32 v[17:18], v[21:22], v[17:18]
	;; [unrolled: 5-line block ×5, first 2 shown]
	v_fma_f64 v[21:22], v[35:36], s[24:25], -v[238:239]
	v_add_f64_e32 v[19:20], v[21:22], v[19:20]
	v_fma_f64 v[21:22], v[70:71], s[12:13], v[240:241]
	s_delay_alu instid0(VALU_DEP_1) | instskip(SKIP_2) | instid1(VALU_DEP_2)
	v_add_f64_e32 v[78:79], v[21:22], v[17:18]
	v_fma_f64 v[21:22], v[72:73], s[12:13], -v[242:243]
	v_mul_f64_e32 v[16:17], s[52:53], v[188:189]
	v_add_f64_e32 v[80:81], v[21:22], v[19:20]
	v_fma_f64 v[21:22], v[49:50], s[6:7], v[244:245]
	v_fma_f64 v[18:19], v[70:71], s[24:25], v[63:64]
	s_delay_alu instid0(VALU_DEP_2) | instskip(SKIP_1) | instid1(VALU_DEP_2)
	v_add_f64_e32 v[21:22], v[21:22], v[23:24]
	v_fma_f64 v[23:24], v[51:52], s[6:7], -v[246:247]
	v_add_f64_e32 v[21:22], v[27:28], v[21:22]
	s_delay_alu instid0(VALU_DEP_2) | instskip(SKIP_2) | instid1(VALU_DEP_2)
	v_add_f64_e32 v[23:24], v[23:24], v[192:193]
	v_fma_f64 v[27:28], v[47:48], s[12:13], -v[250:251]
	v_mul_f64_e32 v[192:193], s[38:39], v[176:177]
	v_add_f64_e32 v[23:24], v[27:28], v[23:24]
	v_fma_f64 v[27:28], v[41:42], s[26:27], v[252:253]
	s_delay_alu instid0(VALU_DEP_1) | instskip(SKIP_1) | instid1(VALU_DEP_1)
	v_add_f64_e32 v[21:22], v[27:28], v[21:22]
	v_fma_f64 v[27:28], v[43:44], s[26:27], -v[254:255]
	v_add_f64_e32 v[23:24], v[27:28], v[23:24]
	v_fma_f64 v[27:28], v[37:38], s[18:19], v[53:54]
	s_delay_alu instid0(VALU_DEP_1) | instskip(SKIP_1) | instid1(VALU_DEP_1)
	v_add_f64_e32 v[21:22], v[27:28], v[21:22]
	v_fma_f64 v[27:28], v[39:40], s[18:19], -v[55:56]
	v_add_f64_e32 v[23:24], v[27:28], v[23:24]
	v_fma_f64 v[27:28], v[29:30], s[8:9], v[57:58]
	s_delay_alu instid0(VALU_DEP_1) | instskip(SKIP_1) | instid1(VALU_DEP_2)
	v_add_f64_e32 v[21:22], v[27:28], v[21:22]
	v_fma_f64 v[27:28], v[31:32], s[8:9], -v[59:60]
	v_add_f64_e32 v[10:11], v[10:11], v[21:22]
	s_delay_alu instid0(VALU_DEP_2) | instskip(SKIP_2) | instid1(VALU_DEP_4)
	v_add_f64_e32 v[23:24], v[27:28], v[23:24]
	v_mul_f64_e32 v[20:21], s[30:31], v[130:131]
	v_fma_f64 v[27:28], v[45:46], s[10:11], v[192:193]
	v_add_f64_e32 v[212:213], v[18:19], v[10:11]
	s_delay_alu instid0(VALU_DEP_4) | instskip(NEXT) | instid1(VALU_DEP_4)
	v_add_f64_e32 v[14:15], v[14:15], v[23:24]
	v_fma_f64 v[18:19], v[72:73], s[24:25], -v[20:21]
	v_mul_f64_e32 v[10:11], s[54:55], v[142:143]
	s_delay_alu instid0(VALU_DEP_2) | instskip(SKIP_3) | instid1(VALU_DEP_3)
	v_add_f64_e32 v[214:215], v[18:19], v[14:15]
	v_fma_f64 v[18:19], v[49:50], s[16:17], v[16:17]
	v_mul_f64_e32 v[14:15], s[34:35], v[168:169]
	v_fma_f64 v[16:17], v[49:50], s[16:17], -v[16:17]
	v_add_f64_e32 v[18:19], v[18:19], v[25:26]
	v_fma_f64 v[25:26], v[51:52], s[16:17], -v[190:191]
	s_delay_alu instid0(VALU_DEP_4) | instskip(NEXT) | instid1(VALU_DEP_4)
	v_fma_f64 v[22:23], v[41:42], s[6:7], v[14:15]
	v_add_f64_e32 v[16:17], v[16:17], v[196:197]
	v_fma_f64 v[14:15], v[41:42], s[6:7], -v[14:15]
	v_add_f64_e32 v[18:19], v[27:28], v[18:19]
	v_add_f64_e32 v[25:26], v[25:26], v[194:195]
	v_mul_f64_e32 v[194:195], s[38:39], v[174:175]
	s_delay_alu instid0(VALU_DEP_3) | instskip(SKIP_1) | instid1(VALU_DEP_3)
	v_add_f64_e32 v[18:19], v[22:23], v[18:19]
	v_mul_f64_e32 v[22:23], s[34:35], v[158:159]
	v_fma_f64 v[27:28], v[47:48], s[10:11], -v[194:195]
	s_delay_alu instid0(VALU_DEP_1) | instskip(NEXT) | instid1(VALU_DEP_3)
	v_add_f64_e32 v[25:26], v[27:28], v[25:26]
	v_fma_f64 v[27:28], v[43:44], s[6:7], -v[22:23]
	s_delay_alu instid0(VALU_DEP_1) | instskip(SKIP_2) | instid1(VALU_DEP_2)
	v_add_f64_e32 v[24:25], v[27:28], v[25:26]
	v_fma_f64 v[26:27], v[37:38], s[8:9], v[12:13]
	v_fma_f64 v[12:13], v[37:38], s[8:9], -v[12:13]
	v_add_f64_e32 v[18:19], v[26:27], v[18:19]
	v_fma_f64 v[26:27], v[39:40], s[8:9], -v[10:11]
	v_fma_f64 v[10:11], v[39:40], s[8:9], v[10:11]
	s_delay_alu instid0(VALU_DEP_2) | instskip(SKIP_2) | instid1(VALU_DEP_2)
	v_add_f64_e32 v[24:25], v[26:27], v[24:25]
	v_fma_f64 v[26:27], v[29:30], s[12:13], v[8:9]
	v_fma_f64 v[8:9], v[29:30], s[12:13], -v[8:9]
	v_add_f64_e32 v[18:19], v[26:27], v[18:19]
	v_fma_f64 v[26:27], v[31:32], s[12:13], -v[6:7]
	v_fma_f64 v[6:7], v[31:32], s[12:13], v[6:7]
	s_delay_alu instid0(VALU_DEP_2) | instskip(SKIP_2) | instid1(VALU_DEP_2)
	;; [unrolled: 7-line block ×3, first 2 shown]
	v_add_f64_e32 v[27:28], v[26:27], v[24:25]
	v_fma_f64 v[24:25], v[70:71], s[26:27], v[0:1]
	v_fma_f64 v[0:1], v[70:71], s[26:27], -v[0:1]
	v_add_f64_e32 v[25:26], v[24:25], v[18:19]
	v_mul_f64_e32 v[18:19], s[46:47], v[130:131]
	s_delay_alu instid0(VALU_DEP_1) | instskip(NEXT) | instid1(VALU_DEP_1)
	v_fma_f64 v[98:99], v[72:73], s[26:27], -v[18:19]
	v_add_f64_e32 v[27:28], v[98:99], v[27:28]
	v_fma_f64 v[98:99], v[51:52], s[16:17], v[190:191]
	v_fma_f64 v[190:191], v[45:46], s[10:11], -v[192:193]
	s_delay_alu instid0(VALU_DEP_2) | instskip(NEXT) | instid1(VALU_DEP_2)
	v_add_f64_e32 v[98:99], v[98:99], v[198:199]
	v_add_f64_e32 v[16:17], v[190:191], v[16:17]
	v_fma_f64 v[190:191], v[47:48], s[10:11], v[194:195]
	v_mul_f64_e32 v[198:199], s[50:51], v[136:137]
	v_mul_f64_e32 v[136:137], s[28:29], v[136:137]
	s_delay_alu instid0(VALU_DEP_4) | instskip(NEXT) | instid1(VALU_DEP_4)
	v_add_f64_e32 v[14:15], v[14:15], v[16:17]
	v_add_f64_e32 v[98:99], v[190:191], v[98:99]
	v_fma_f64 v[16:17], v[43:44], s[6:7], v[22:23]
	s_delay_alu instid0(VALU_DEP_3) | instskip(NEXT) | instid1(VALU_DEP_2)
	v_add_f64_e32 v[12:13], v[12:13], v[14:15]
	v_add_f64_e32 v[16:17], v[16:17], v[98:99]
	s_delay_alu instid0(VALU_DEP_2) | instskip(NEXT) | instid1(VALU_DEP_2)
	v_add_f64_e32 v[8:9], v[8:9], v[12:13]
	v_add_f64_e32 v[10:11], v[10:11], v[16:17]
	s_delay_alu instid0(VALU_DEP_2) | instskip(SKIP_1) | instid1(VALU_DEP_3)
	v_add_f64_e32 v[4:5], v[4:5], v[8:9]
	v_mul_f64_e32 v[8:9], s[40:41], v[176:177]
	v_add_f64_e32 v[6:7], v[6:7], v[10:11]
	s_delay_alu instid0(VALU_DEP_3) | instskip(SKIP_1) | instid1(VALU_DEP_3)
	v_add_f64_e32 v[190:191], v[0:1], v[4:5]
	v_mul_f64_e32 v[0:1], s[46:47], v[188:189]
	v_add_f64_e32 v[2:3], v[2:3], v[6:7]
	v_fma_f64 v[6:7], v[72:73], s[26:27], v[18:19]
	v_mul_f64_e32 v[4:5], s[46:47], v[186:187]
	v_fma_f64 v[10:11], v[45:46], s[8:9], v[8:9]
	s_delay_alu instid0(VALU_DEP_3) | instskip(SKIP_1) | instid1(VALU_DEP_4)
	v_add_f64_e32 v[192:193], v[6:7], v[2:3]
	v_fma_f64 v[2:3], v[49:50], s[26:27], v[0:1]
	v_fma_f64 v[6:7], v[51:52], s[26:27], -v[4:5]
	v_fma_f64 v[0:1], v[49:50], s[26:27], -v[0:1]
	v_fma_f64 v[4:5], v[51:52], s[26:27], v[4:5]
	s_delay_alu instid0(VALU_DEP_4) | instskip(NEXT) | instid1(VALU_DEP_4)
	v_add_f64_e32 v[2:3], v[2:3], v[200:201]
	v_add_f64_e32 v[6:7], v[6:7], v[202:203]
	v_mul_f64_e32 v[200:201], s[50:51], v[134:135]
	v_mul_f64_e32 v[202:203], s[28:29], v[132:133]
	v_add_f64_e32 v[0:1], v[0:1], v[204:205]
	v_add_f64_e32 v[4:5], v[4:5], v[206:207]
	v_mul_f64_e32 v[134:135], s[28:29], v[134:135]
	v_add_f64_e32 v[2:3], v[10:11], v[2:3]
	v_mul_f64_e32 v[10:11], s[40:41], v[174:175]
	s_delay_alu instid0(VALU_DEP_1) | instskip(NEXT) | instid1(VALU_DEP_1)
	v_fma_f64 v[12:13], v[47:48], s[8:9], -v[10:11]
	v_add_f64_e32 v[6:7], v[12:13], v[6:7]
	v_mul_f64_e32 v[12:13], s[58:59], v[168:169]
	s_delay_alu instid0(VALU_DEP_1) | instskip(NEXT) | instid1(VALU_DEP_1)
	v_fma_f64 v[14:15], v[41:42], s[24:25], v[12:13]
	v_add_f64_e32 v[2:3], v[14:15], v[2:3]
	v_mul_f64_e32 v[14:15], s[58:59], v[158:159]
	s_delay_alu instid0(VALU_DEP_1) | instskip(NEXT) | instid1(VALU_DEP_1)
	v_fma_f64 v[16:17], v[43:44], s[24:25], -v[14:15]
	v_add_f64_e32 v[6:7], v[16:17], v[6:7]
	v_mul_f64_e32 v[16:17], s[38:39], v[148:149]
	s_delay_alu instid0(VALU_DEP_1) | instskip(NEXT) | instid1(VALU_DEP_1)
	v_fma_f64 v[18:19], v[37:38], s[10:11], v[16:17]
	;; [unrolled: 8-line block ×3, first 2 shown]
	v_add_f64_e32 v[2:3], v[98:99], v[2:3]
	v_mul_f64_e32 v[98:99], s[36:37], v[138:139]
	s_delay_alu instid0(VALU_DEP_1) | instskip(NEXT) | instid1(VALU_DEP_1)
	v_fma_f64 v[194:195], v[31:32], s[18:19], -v[98:99]
	v_add_f64_e32 v[6:7], v[194:195], v[6:7]
	v_fma_f64 v[194:195], v[33:34], s[12:13], v[198:199]
	s_delay_alu instid0(VALU_DEP_1) | instskip(SKIP_1) | instid1(VALU_DEP_1)
	v_add_f64_e32 v[2:3], v[194:195], v[2:3]
	v_fma_f64 v[194:195], v[35:36], s[12:13], -v[200:201]
	v_add_f64_e32 v[6:7], v[194:195], v[6:7]
	v_fma_f64 v[194:195], v[70:71], s[16:17], v[202:203]
	s_delay_alu instid0(VALU_DEP_1) | instskip(SKIP_1) | instid1(VALU_DEP_1)
	v_add_f64_e32 v[194:195], v[194:195], v[2:3]
	v_mul_f64_e32 v[2:3], s[28:29], v[130:131]
	v_fma_f64 v[196:197], v[72:73], s[16:17], -v[2:3]
	v_fma_f64 v[2:3], v[72:73], s[16:17], v[2:3]
	s_delay_alu instid0(VALU_DEP_2) | instskip(SKIP_2) | instid1(VALU_DEP_2)
	v_add_f64_e32 v[196:197], v[196:197], v[6:7]
	v_fma_f64 v[6:7], v[45:46], s[8:9], -v[8:9]
	v_mul_f64_e32 v[8:9], s[34:35], v[176:177]
	v_add_f64_e32 v[0:1], v[6:7], v[0:1]
	v_fma_f64 v[6:7], v[47:48], s[8:9], v[10:11]
	s_delay_alu instid0(VALU_DEP_3) | instskip(NEXT) | instid1(VALU_DEP_2)
	v_fma_f64 v[10:11], v[45:46], s[6:7], v[8:9]
	v_add_f64_e32 v[4:5], v[6:7], v[4:5]
	v_fma_f64 v[6:7], v[41:42], s[24:25], -v[12:13]
	s_delay_alu instid0(VALU_DEP_1) | instskip(SKIP_1) | instid1(VALU_DEP_1)
	v_add_f64_e32 v[0:1], v[6:7], v[0:1]
	v_fma_f64 v[6:7], v[43:44], s[24:25], v[14:15]
	v_add_f64_e32 v[4:5], v[6:7], v[4:5]
	v_fma_f64 v[6:7], v[37:38], s[10:11], -v[16:17]
	s_delay_alu instid0(VALU_DEP_1) | instskip(SKIP_1) | instid1(VALU_DEP_1)
	v_add_f64_e32 v[0:1], v[6:7], v[0:1]
	;; [unrolled: 5-line block ×4, first 2 shown]
	v_fma_f64 v[6:7], v[35:36], s[12:13], v[200:201]
	v_add_f64_e32 v[4:5], v[6:7], v[4:5]
	v_fma_f64 v[6:7], v[70:71], s[16:17], -v[202:203]
	s_delay_alu instid0(VALU_DEP_2) | instskip(NEXT) | instid1(VALU_DEP_2)
	v_add_f64_e32 v[200:201], v[2:3], v[4:5]
	v_add_f64_e32 v[198:199], v[6:7], v[0:1]
	v_mul_f64_e32 v[0:1], s[48:49], v[188:189]
	v_mul_f64_e32 v[4:5], s[48:49], v[186:187]
	s_delay_alu instid0(VALU_DEP_2) | instskip(NEXT) | instid1(VALU_DEP_2)
	v_fma_f64 v[2:3], v[49:50], s[10:11], v[0:1]
	v_fma_f64 v[6:7], v[51:52], s[10:11], -v[4:5]
	v_fma_f64 v[0:1], v[49:50], s[10:11], -v[0:1]
	s_delay_alu instid0(VALU_DEP_3) | instskip(NEXT) | instid1(VALU_DEP_3)
	v_add_f64_e32 v[2:3], v[2:3], v[208:209]
	v_add_f64_e32 v[6:7], v[6:7], v[210:211]
	s_delay_alu instid0(VALU_DEP_3) | instskip(NEXT) | instid1(VALU_DEP_3)
	v_add_f64_e32 v[0:1], v[0:1], v[94:95]
	v_add_f64_e32 v[2:3], v[10:11], v[2:3]
	v_mul_f64_e32 v[10:11], s[34:35], v[174:175]
	s_delay_alu instid0(VALU_DEP_1) | instskip(NEXT) | instid1(VALU_DEP_1)
	v_fma_f64 v[12:13], v[47:48], s[6:7], -v[10:11]
	v_add_f64_e32 v[6:7], v[12:13], v[6:7]
	v_mul_f64_e32 v[12:13], s[50:51], v[168:169]
	s_delay_alu instid0(VALU_DEP_1) | instskip(NEXT) | instid1(VALU_DEP_1)
	v_fma_f64 v[14:15], v[41:42], s[12:13], v[12:13]
	v_add_f64_e32 v[2:3], v[14:15], v[2:3]
	v_mul_f64_e32 v[14:15], s[50:51], v[158:159]
	s_delay_alu instid0(VALU_DEP_1) | instskip(NEXT) | instid1(VALU_DEP_1)
	v_fma_f64 v[16:17], v[43:44], s[12:13], -v[14:15]
	v_add_f64_e32 v[6:7], v[16:17], v[6:7]
	v_mul_f64_e32 v[16:17], s[30:31], v[148:149]
	s_delay_alu instid0(VALU_DEP_1) | instskip(NEXT) | instid1(VALU_DEP_1)
	v_fma_f64 v[18:19], v[37:38], s[24:25], v[16:17]
	v_add_f64_e32 v[2:3], v[18:19], v[2:3]
	v_mul_f64_e32 v[18:19], s[30:31], v[142:143]
	s_delay_alu instid0(VALU_DEP_1) | instskip(NEXT) | instid1(VALU_DEP_1)
	v_fma_f64 v[22:23], v[39:40], s[24:25], -v[18:19]
	v_add_f64_e32 v[6:7], v[22:23], v[6:7]
	v_mul_f64_e32 v[22:23], s[46:47], v[140:141]
	v_mul_f64_e32 v[140:141], s[54:55], v[130:131]
	s_delay_alu instid0(VALU_DEP_2) | instskip(NEXT) | instid1(VALU_DEP_1)
	v_fma_f64 v[98:99], v[29:30], s[26:27], v[22:23]
	v_add_f64_e32 v[2:3], v[98:99], v[2:3]
	v_mul_f64_e32 v[98:99], s[46:47], v[138:139]
	s_delay_alu instid0(VALU_DEP_1) | instskip(NEXT) | instid1(VALU_DEP_1)
	v_fma_f64 v[138:139], v[31:32], s[26:27], -v[98:99]
	v_add_f64_e32 v[6:7], v[138:139], v[6:7]
	v_fma_f64 v[138:139], v[33:34], s[16:17], v[136:137]
	s_delay_alu instid0(VALU_DEP_1) | instskip(SKIP_1) | instid1(VALU_DEP_1)
	v_add_f64_e32 v[2:3], v[138:139], v[2:3]
	v_fma_f64 v[138:139], v[35:36], s[16:17], -v[134:135]
	v_add_f64_e32 v[6:7], v[138:139], v[6:7]
	v_mul_f64_e32 v[138:139], s[54:55], v[132:133]
	s_delay_alu instid0(VALU_DEP_1) | instskip(NEXT) | instid1(VALU_DEP_1)
	v_fma_f64 v[130:131], v[70:71], s[8:9], v[138:139]
	v_add_f64_e32 v[130:131], v[130:131], v[2:3]
	v_fma_f64 v[2:3], v[72:73], s[8:9], -v[140:141]
	s_delay_alu instid0(VALU_DEP_1) | instskip(SKIP_3) | instid1(VALU_DEP_3)
	v_add_f64_e32 v[132:133], v[2:3], v[6:7]
	v_fma_f64 v[2:3], v[51:52], s[10:11], v[4:5]
	v_fma_f64 v[4:5], v[45:46], s[6:7], -v[8:9]
	v_fma_f64 v[6:7], v[72:73], s[8:9], v[140:141]
	v_add_f64_e32 v[2:3], v[2:3], v[96:97]
	s_delay_alu instid0(VALU_DEP_3) | instskip(SKIP_1) | instid1(VALU_DEP_1)
	v_add_f64_e32 v[0:1], v[4:5], v[0:1]
	v_fma_f64 v[4:5], v[47:48], s[6:7], v[10:11]
	v_add_f64_e32 v[2:3], v[4:5], v[2:3]
	v_fma_f64 v[4:5], v[41:42], s[12:13], -v[12:13]
	s_delay_alu instid0(VALU_DEP_1) | instskip(SKIP_1) | instid1(VALU_DEP_1)
	v_add_f64_e32 v[0:1], v[4:5], v[0:1]
	v_fma_f64 v[4:5], v[43:44], s[12:13], v[14:15]
	v_add_f64_e32 v[2:3], v[4:5], v[2:3]
	v_fma_f64 v[4:5], v[37:38], s[24:25], -v[16:17]
	s_delay_alu instid0(VALU_DEP_1) | instskip(SKIP_1) | instid1(VALU_DEP_1)
	;; [unrolled: 5-line block ×4, first 2 shown]
	v_add_f64_e32 v[0:1], v[4:5], v[0:1]
	v_fma_f64 v[4:5], v[35:36], s[16:17], v[134:135]
	v_add_f64_e32 v[2:3], v[4:5], v[2:3]
	v_fma_f64 v[4:5], v[70:71], s[8:9], -v[138:139]
	s_delay_alu instid0(VALU_DEP_2) | instskip(NEXT) | instid1(VALU_DEP_2)
	v_add_f64_e32 v[136:137], v[6:7], v[2:3]
	v_add_f64_e32 v[134:135], v[4:5], v[0:1]
	scratch_load_b64 v[4:5], off, off offset:212 th:TH_LOAD_LU ; 8-byte Folded Reload
	v_fma_f64 v[0:1], v[49:50], s[6:7], -v[244:245]
	v_fma_f64 v[2:3], v[51:52], s[6:7], v[246:247]
	v_fma_f64 v[6:7], v[72:73], s[24:25], v[20:21]
	s_delay_alu instid0(VALU_DEP_3) | instskip(SKIP_1) | instid1(VALU_DEP_3)
	v_add_f64_e32 v[0:1], v[0:1], v[100:101]
	s_wait_loadcnt 0x0
	v_add_f64_e32 v[2:3], v[2:3], v[4:5]
	v_fma_f64 v[4:5], v[45:46], s[12:13], -v[248:249]
	s_delay_alu instid0(VALU_DEP_1) | instskip(SKIP_1) | instid1(VALU_DEP_1)
	v_add_f64_e32 v[0:1], v[4:5], v[0:1]
	v_fma_f64 v[4:5], v[47:48], s[12:13], v[250:251]
	v_add_f64_e32 v[2:3], v[4:5], v[2:3]
	v_fma_f64 v[4:5], v[41:42], s[26:27], -v[252:253]
	s_delay_alu instid0(VALU_DEP_1) | instskip(SKIP_1) | instid1(VALU_DEP_1)
	v_add_f64_e32 v[0:1], v[4:5], v[0:1]
	v_fma_f64 v[4:5], v[43:44], s[26:27], v[254:255]
	v_add_f64_e32 v[2:3], v[4:5], v[2:3]
	v_fma_f64 v[4:5], v[37:38], s[18:19], -v[53:54]
	s_delay_alu instid0(VALU_DEP_1) | instskip(SKIP_1) | instid1(VALU_DEP_1)
	v_add_f64_e32 v[0:1], v[4:5], v[0:1]
	v_fma_f64 v[4:5], v[39:40], s[18:19], v[55:56]
	v_add_f64_e32 v[2:3], v[4:5], v[2:3]
	v_fma_f64 v[4:5], v[29:30], s[8:9], -v[57:58]
	s_delay_alu instid0(VALU_DEP_1) | instskip(SKIP_4) | instid1(VALU_DEP_1)
	v_add_f64_e32 v[0:1], v[4:5], v[0:1]
	v_fma_f64 v[4:5], v[31:32], s[8:9], v[59:60]
	scratch_load_b32 v59, off, off offset:4 ; 4-byte Folded Reload
	v_add_f64_e32 v[2:3], v[4:5], v[2:3]
	v_fma_f64 v[4:5], v[33:34], s[10:11], -v[61:62]
	v_add_f64_e32 v[0:1], v[4:5], v[0:1]
	v_fma_f64 v[4:5], v[35:36], s[10:11], v[65:66]
	s_delay_alu instid0(VALU_DEP_1) | instskip(SKIP_1) | instid1(VALU_DEP_2)
	v_add_f64_e32 v[2:3], v[4:5], v[2:3]
	v_fma_f64 v[4:5], v[70:71], s[24:25], -v[63:64]
	v_add_f64_e32 v[140:141], v[6:7], v[2:3]
	scratch_load_b64 v[2:3], off, off offset:204 th:TH_LOAD_LU ; 8-byte Folded Reload
	v_add_f64_e32 v[138:139], v[4:5], v[0:1]
	scratch_load_b64 v[4:5], off, off offset:196 th:TH_LOAD_LU ; 8-byte Folded Reload
	v_fma_f64 v[0:1], v[49:50], s[18:19], -v[216:217]
	v_fma_f64 v[6:7], v[72:73], s[12:13], v[242:243]
	s_wait_loadcnt 0x1
	s_delay_alu instid0(VALU_DEP_2) | instskip(SKIP_2) | instid1(VALU_DEP_1)
	v_add_f64_e32 v[0:1], v[0:1], v[2:3]
	v_fma_f64 v[2:3], v[51:52], s[18:19], v[218:219]
	s_wait_loadcnt 0x0
	v_add_f64_e32 v[2:3], v[2:3], v[4:5]
	v_fma_f64 v[4:5], v[45:46], s[16:17], -v[220:221]
	s_delay_alu instid0(VALU_DEP_1) | instskip(SKIP_1) | instid1(VALU_DEP_1)
	v_add_f64_e32 v[0:1], v[4:5], v[0:1]
	v_fma_f64 v[4:5], v[47:48], s[16:17], v[222:223]
	v_add_f64_e32 v[2:3], v[4:5], v[2:3]
	v_fma_f64 v[4:5], v[41:42], s[10:11], -v[224:225]
	s_delay_alu instid0(VALU_DEP_1) | instskip(SKIP_1) | instid1(VALU_DEP_1)
	v_add_f64_e32 v[0:1], v[4:5], v[0:1]
	v_fma_f64 v[4:5], v[43:44], s[10:11], v[226:227]
	;; [unrolled: 5-line block ×5, first 2 shown]
	v_add_f64_e32 v[2:3], v[4:5], v[2:3]
	v_fma_f64 v[4:5], v[70:71], s[12:13], -v[240:241]
	s_delay_alu instid0(VALU_DEP_2)
	v_add_f64_e32 v[100:101], v[6:7], v[2:3]
	scratch_load_b64 v[2:3], off, off offset:188 th:TH_LOAD_LU ; 8-byte Folded Reload
	v_add_f64_e32 v[98:99], v[4:5], v[0:1]
	scratch_load_b64 v[4:5], off, off offset:180 th:TH_LOAD_LU ; 8-byte Folded Reload
	v_fma_f64 v[0:1], v[49:50], s[24:25], -v[144:145]
	v_fma_f64 v[6:7], v[72:73], s[6:7], v[180:181]
	s_wait_loadcnt 0x1
	s_delay_alu instid0(VALU_DEP_2) | instskip(SKIP_2) | instid1(VALU_DEP_1)
	v_add_f64_e32 v[0:1], v[0:1], v[2:3]
	v_fma_f64 v[2:3], v[51:52], s[24:25], v[146:147]
	s_wait_loadcnt 0x0
	v_add_f64_e32 v[2:3], v[2:3], v[4:5]
	v_fma_f64 v[4:5], v[45:46], s[18:19], -v[150:151]
	s_delay_alu instid0(VALU_DEP_1) | instskip(SKIP_1) | instid1(VALU_DEP_1)
	v_add_f64_e32 v[0:1], v[4:5], v[0:1]
	v_fma_f64 v[4:5], v[47:48], s[18:19], v[152:153]
	v_add_f64_e32 v[2:3], v[4:5], v[2:3]
	v_fma_f64 v[4:5], v[41:42], s[16:17], -v[154:155]
	s_delay_alu instid0(VALU_DEP_1) | instskip(SKIP_1) | instid1(VALU_DEP_1)
	v_add_f64_e32 v[0:1], v[4:5], v[0:1]
	v_fma_f64 v[4:5], v[43:44], s[16:17], v[156:157]
	;; [unrolled: 5-line block ×5, first 2 shown]
	v_add_f64_e32 v[2:3], v[4:5], v[2:3]
	v_fma_f64 v[4:5], v[70:71], s[6:7], -v[178:179]
	s_delay_alu instid0(VALU_DEP_2)
	v_add_f64_e32 v[96:97], v[6:7], v[2:3]
	scratch_load_b64 v[2:3], off, off offset:68 th:TH_LOAD_LU ; 8-byte Folded Reload
	v_add_f64_e32 v[94:95], v[4:5], v[0:1]
	scratch_load_b64 v[4:5], off, off offset:52 th:TH_LOAD_LU ; 8-byte Folded Reload
	v_fma_f64 v[0:1], v[49:50], s[8:9], -v[102:103]
	v_fma_f64 v[6:7], v[72:73], s[10:11], v[128:129]
	s_wait_loadcnt 0x1
	s_delay_alu instid0(VALU_DEP_2) | instskip(SKIP_2) | instid1(VALU_DEP_1)
	v_add_f64_e32 v[0:1], v[0:1], v[2:3]
	v_fma_f64 v[2:3], v[51:52], s[8:9], v[104:105]
	s_wait_loadcnt 0x0
	v_add_f64_e32 v[2:3], v[2:3], v[4:5]
	v_fma_f64 v[4:5], v[45:46], s[24:25], -v[74:75]
	s_delay_alu instid0(VALU_DEP_1) | instskip(SKIP_1) | instid1(VALU_DEP_1)
	v_add_f64_e32 v[0:1], v[4:5], v[0:1]
	v_fma_f64 v[4:5], v[47:48], s[24:25], v[76:77]
	v_add_f64_e32 v[2:3], v[4:5], v[2:3]
	v_fma_f64 v[4:5], v[41:42], s[18:19], -v[110:111]
	s_delay_alu instid0(VALU_DEP_1) | instskip(SKIP_1) | instid1(VALU_DEP_1)
	v_add_f64_e32 v[0:1], v[4:5], v[0:1]
	v_fma_f64 v[4:5], v[43:44], s[18:19], v[112:113]
	;; [unrolled: 5-line block ×5, first 2 shown]
	v_add_f64_e32 v[2:3], v[4:5], v[2:3]
	v_fma_f64 v[4:5], v[70:71], s[10:11], -v[126:127]
	s_delay_alu instid0(VALU_DEP_2) | instskip(NEXT) | instid1(VALU_DEP_2)
	v_add_f64_e32 v[104:105], v[6:7], v[2:3]
	v_add_f64_e32 v[102:103], v[4:5], v[0:1]
	s_clause 0x3
	scratch_load_b64 v[0:1], off, off offset:84 th:TH_LOAD_LU
	scratch_load_b64 v[4:5], off, off offset:20 th:TH_LOAD_LU
	;; [unrolled: 1-line block ×4, first 2 shown]
	s_wait_loadcnt 0x3
	v_fma_f64 v[0:1], v[49:50], s[12:13], -v[0:1]
	s_wait_loadcnt 0x0
	v_fma_f64 v[6:7], v[47:48], s[26:27], v[6:7]
	s_delay_alu instid0(VALU_DEP_2) | instskip(SKIP_3) | instid1(VALU_DEP_1)
	v_add_f64_e32 v[0:1], v[0:1], v[4:5]
	scratch_load_b64 v[4:5], off, off offset:36 th:TH_LOAD_LU ; 8-byte Folded Reload
	v_fma_f64 v[2:3], v[51:52], s[12:13], v[2:3]
	s_wait_loadcnt 0x0
	v_add_f64_e32 v[2:3], v[2:3], v[4:5]
	scratch_load_b64 v[4:5], off, off offset:108 th:TH_LOAD_LU ; 8-byte Folded Reload
	v_add_f64_e32 v[2:3], v[6:7], v[2:3]
	scratch_load_b64 v[6:7], off, off offset:132 th:TH_LOAD_LU ; 8-byte Folded Reload
	s_wait_loadcnt 0x1
	v_fma_f64 v[4:5], v[45:46], s[26:27], -v[4:5]
	s_delay_alu instid0(VALU_DEP_1) | instskip(SKIP_3) | instid1(VALU_DEP_1)
	v_add_f64_e32 v[0:1], v[4:5], v[0:1]
	scratch_load_b64 v[4:5], off, off offset:124 th:TH_LOAD_LU ; 8-byte Folded Reload
	s_wait_loadcnt 0x1
	v_fma_f64 v[6:7], v[43:44], s[8:9], v[6:7]
	v_add_f64_e32 v[2:3], v[6:7], v[2:3]
	scratch_load_b64 v[6:7], off, off offset:148 th:TH_LOAD_LU ; 8-byte Folded Reload
	s_wait_loadcnt 0x1
	v_fma_f64 v[4:5], v[41:42], s[8:9], -v[4:5]
	s_delay_alu instid0(VALU_DEP_1) | instskip(SKIP_3) | instid1(VALU_DEP_1)
	v_add_f64_e32 v[0:1], v[4:5], v[0:1]
	scratch_load_b64 v[4:5], off, off offset:140 th:TH_LOAD_LU ; 8-byte Folded Reload
	s_wait_loadcnt 0x1
	v_fma_f64 v[6:7], v[39:40], s[16:17], v[6:7]
	;; [unrolled: 9-line block ×3, first 2 shown]
	v_add_f64_e32 v[2:3], v[6:7], v[2:3]
	scratch_load_b64 v[6:7], off, off offset:172 th:TH_LOAD_LU ; 8-byte Folded Reload
	s_wait_loadcnt 0x1
	v_fma_f64 v[4:5], v[29:30], s[24:25], -v[4:5]
	s_delay_alu instid0(VALU_DEP_1) | instskip(SKIP_3) | instid1(VALU_DEP_2)
	v_add_f64_e32 v[0:1], v[4:5], v[0:1]
	v_fma_f64 v[4:5], v[33:34], s[6:7], -v[67:68]
	s_wait_loadcnt 0x0
	v_fma_f64 v[6:7], v[35:36], s[6:7], v[6:7]
	v_add_f64_e32 v[0:1], v[4:5], v[0:1]
	v_fma_f64 v[4:5], v[70:71], s[18:19], -v[90:91]
	s_delay_alu instid0(VALU_DEP_3) | instskip(SKIP_1) | instid1(VALU_DEP_3)
	v_add_f64_e32 v[2:3], v[6:7], v[2:3]
	v_fma_f64 v[6:7], v[72:73], s[18:19], v[92:93]
	v_add_f64_e32 v[30:31], v[4:5], v[0:1]
	scratch_load_b32 v1, off, off           ; 4-byte Folded Reload
	v_mul_u32_u24_e32 v0, 0x770, v59
	v_add_f64_e32 v[32:33], v[6:7], v[2:3]
	s_wait_loadcnt 0x0
	v_lshlrev_b32_e32 v29, 4, v1
	s_delay_alu instid0(VALU_DEP_1)
	v_add3_u32 v0, 0, v0, v29
	ds_store_b128 v0, v[182:185]
	ds_store_b128 v0, v[106:109] offset:112
	s_load_b64 s[62:63], s[62:63], 0x0
	ds_store_b128 v0, v[86:89] offset:224
	ds_store_b128 v0, v[82:85] offset:336
	;; [unrolled: 1-line block ×15, first 2 shown]
	global_wb scope:SCOPE_SE
	s_wait_storecnt_dscnt 0x0
	s_wait_kmcnt 0x0
	s_barrier_signal -1
	s_barrier_wait -1
	global_inv scope:SCOPE_SE
	s_and_saveexec_b32 s3, s1
	s_cbranch_execz .LBB0_51
; %bb.50:
	v_mul_hi_u32 v0, 0xf0f0f10, v59
	s_add_co_i32 s1, 0, 0x7e70
	v_mul_lo_u32 v1, 0xffffffef, v69
	s_delay_alu instid0(VALU_DEP_2) | instskip(NEXT) | instid1(VALU_DEP_1)
	v_mul_u32_u24_e32 v0, 17, v0
	v_sub_nc_u32_e32 v255, v59, v0
	s_delay_alu instid0(VALU_DEP_1) | instskip(SKIP_1) | instid1(VALU_DEP_1)
	v_mul_lo_u32 v2, v255, v69
	v_add_nc_u32_e32 v0, 0x110, v255
	v_mul_lo_u32 v3, v0, v69
	s_delay_alu instid0(VALU_DEP_3) | instskip(SKIP_1) | instid1(VALU_DEP_2)
	v_lshrrev_b32_e32 v0, 2, v2
	v_and_b32_e32 v5, 63, v2
	v_and_b32_e32 v0, 0x3f0, v0
	s_delay_alu instid0(VALU_DEP_4) | instskip(SKIP_1) | instid1(VALU_DEP_4)
	v_lshrrev_b32_e32 v8, 2, v3
	v_and_b32_e32 v4, 63, v3
	v_lshl_add_u32 v6, v5, 4, 0
	v_add_nc_u32_e32 v11, v3, v1
	s_wait_alu 0xfffe
	v_add_nc_u32_e32 v7, s1, v0
	v_and_b32_e32 v5, 0x3f0, v8
	v_lshrrev_b32_e32 v0, 8, v2
	v_lshl_add_u32 v2, v4, 4, 0
	v_lshrrev_b32_e32 v12, 8, v3
	ds_load_b128 v[7:10], v7 offset:1024
	ds_load_b128 v[13:16], v6 offset:32368
	v_add_nc_u32_e32 v6, s1, v5
	v_and_b32_e32 v0, 0x3f0, v0
	v_lshrrev_b32_e32 v22, 8, v11
	ds_load_b128 v[2:5], v2 offset:32368
	ds_load_b128 v[17:20], v6 offset:1024
	v_lshrrev_b32_e32 v6, 2, v11
	v_and_b32_e32 v12, 0x3f0, v12
	v_and_b32_e32 v21, 63, v11
	v_add_nc_u32_e32 v0, s1, v0
	v_and_b32_e32 v25, 0x3f0, v22
	v_and_b32_e32 v6, 0x3f0, v6
	v_add_nc_u32_e32 v11, v11, v1
	v_add_nc_u32_e32 v12, s1, v12
	v_lshl_add_u32 v30, v21, 4, 0
	ds_load_b128 v[21:24], v0 offset:2048
	v_add_nc_u32_e32 v0, s1, v6
	v_add_nc_u32_e32 v6, s1, v25
	ds_load_b128 v[25:28], v12 offset:2048
	ds_load_b128 v[30:33], v30 offset:32368
	;; [unrolled: 1-line block ×4, first 2 shown]
	s_wait_dscnt 0x7
	v_mul_f64_e32 v[50:51], v[15:16], v[9:10]
	v_mul_f64_e32 v[9:10], v[13:14], v[9:10]
	v_lshrrev_b32_e32 v0, 2, v11
	v_and_b32_e32 v6, 63, v11
	v_add_nc_u32_e32 v12, v11, v1
	s_wait_dscnt 0x5
	v_mul_f64_e32 v[54:55], v[4:5], v[19:20]
	v_mul_f64_e32 v[19:20], v[2:3], v[19:20]
	v_and_b32_e32 v0, 0x3f0, v0
	v_lshl_add_u32 v6, v6, 4, 0
	v_lshrrev_b32_e32 v11, 8, v11
	v_lshrrev_b32_e32 v52, 2, v12
	s_delay_alu instid0(VALU_DEP_4)
	v_add_nc_u32_e32 v0, s1, v0
	ds_load_b128 v[46:49], v6 offset:32368
	v_and_b32_e32 v6, 0x3f0, v11
	v_lshrrev_b32_e32 v11, 8, v12
	v_and_b32_e32 v52, 0x3f0, v52
	ds_load_b128 v[42:45], v0 offset:1024
	s_wait_dscnt 0x3
	v_mul_f64_e32 v[56:57], v[32:33], v[36:37]
	v_add_nc_u32_e32 v6, s1, v6
	v_mul_f64_e32 v[36:37], v[30:31], v[36:37]
	v_and_b32_e32 v53, 0x3f0, v11
	v_add_nc_u32_e32 v52, s1, v52
	s_delay_alu instid0(VALU_DEP_2)
	v_add_nc_u32_e32 v58, s1, v53
	v_fma_f64 v[173:174], v[13:14], v[7:8], -v[50:51]
	v_fma_f64 v[10:11], v[7:8], v[15:16], v[9:10]
	ds_load_b128 v[6:9], v6 offset:2048
	v_and_b32_e32 v0, 63, v12
	v_fma_f64 v[63:64], v[2:3], v[17:18], -v[54:55]
	v_fma_f64 v[69:70], v[4:5], v[17:18], v[19:20]
	s_wait_dscnt 0x1
	v_mul_f64_e32 v[17:18], v[48:49], v[44:45]
	v_mul_f64_e32 v[19:20], v[46:47], v[44:45]
	v_lshl_add_u32 v0, v0, 4, 0
	ds_load_b128 v[13:16], v0 offset:32368
	ds_load_b128 v[50:53], v52 offset:1024
	v_add_nc_u32_e32 v0, v12, v1
	ds_load_b128 v[2:5], v58 offset:2048
	v_fma_f64 v[179:180], v[30:31], v[34:35], -v[56:57]
	v_lshrrev_b32_e32 v12, 2, v0
	v_and_b32_e32 v30, 63, v0
	v_fma_f64 v[181:182], v[32:33], v[34:35], v[36:37]
	v_add_nc_u32_e32 v54, v0, v1
	v_lshrrev_b32_e32 v0, 8, v0
	v_and_b32_e32 v12, 0x3f0, v12
	v_lshl_add_u32 v30, v30, 4, 0
	s_delay_alu instid0(VALU_DEP_3) | instskip(NEXT) | instid1(VALU_DEP_3)
	v_and_b32_e32 v0, 0x3f0, v0
	v_add_nc_u32_e32 v12, s1, v12
	s_wait_dscnt 0x1
	v_mul_f64_e32 v[44:45], v[15:16], v[52:53]
	v_mul_f64_e32 v[52:53], v[13:14], v[52:53]
	v_add_nc_u32_e32 v0, s1, v0
	v_fma_f64 v[183:184], v[46:47], v[42:43], -v[17:18]
	v_fma_f64 v[185:186], v[48:49], v[42:43], v[19:20]
	ds_load_b128 v[17:20], v12 offset:1024
	ds_load_b128 v[30:33], v30 offset:32368
	v_lshrrev_b32_e32 v12, 8, v54
	ds_load_b128 v[34:37], v0 offset:2048
	v_and_b32_e32 v12, 0x3f0, v12
	s_delay_alu instid0(VALU_DEP_1)
	v_add_nc_u32_e32 v12, s1, v12
	s_wait_dscnt 0x1
	v_mul_f64_e32 v[42:43], v[32:33], v[19:20]
	v_mul_f64_e32 v[19:20], v[30:31], v[19:20]
	v_fma_f64 v[187:188], v[13:14], v[50:51], -v[44:45]
	v_fma_f64 v[189:190], v[15:16], v[50:51], v[52:53]
	ds_load_b128 v[13:16], v12 offset:2048
	v_lshrrev_b32_e32 v0, 2, v54
	v_and_b32_e32 v12, 63, v54
	s_delay_alu instid0(VALU_DEP_2) | instskip(NEXT) | instid1(VALU_DEP_2)
	v_and_b32_e32 v0, 0x3f0, v0
	v_lshl_add_u32 v12, v12, 4, 0
	s_delay_alu instid0(VALU_DEP_2)
	v_add_nc_u32_e32 v0, s1, v0
	v_fma_f64 v[191:192], v[30:31], v[17:18], -v[42:43]
	v_fma_f64 v[193:194], v[32:33], v[17:18], v[19:20]
	ds_load_b128 v[17:20], v12 offset:32368
	ds_load_b128 v[30:33], v0 offset:1024
	v_add_nc_u32_e32 v0, v54, v1
	s_delay_alu instid0(VALU_DEP_1) | instskip(SKIP_2) | instid1(VALU_DEP_1)
	v_add_nc_u32_e32 v12, v0, v1
	s_wait_dscnt 0x0
	v_mul_f64_e32 v[42:43], v[19:20], v[32:33]
	v_fma_f64 v[195:196], v[17:18], v[30:31], -v[42:43]
	v_mul_f64_e32 v[17:18], v[17:18], v[32:33]
	s_delay_alu instid0(VALU_DEP_1) | instskip(SKIP_4) | instid1(VALU_DEP_4)
	v_fma_f64 v[197:198], v[19:20], v[30:31], v[17:18]
	v_lshrrev_b32_e32 v17, 2, v0
	v_lshrrev_b32_e32 v18, 8, v0
	;; [unrolled: 1-line block ×3, first 2 shown]
	v_and_b32_e32 v0, 63, v0
	v_and_b32_e32 v17, 0x3f0, v17
	s_delay_alu instid0(VALU_DEP_4) | instskip(NEXT) | instid1(VALU_DEP_4)
	v_and_b32_e32 v18, 0x3f0, v18
	v_and_b32_e32 v19, 0x3f0, v19
	s_delay_alu instid0(VALU_DEP_4) | instskip(NEXT) | instid1(VALU_DEP_4)
	v_lshl_add_u32 v0, v0, 4, 0
	v_add_nc_u32_e32 v17, s1, v17
	s_delay_alu instid0(VALU_DEP_4) | instskip(NEXT) | instid1(VALU_DEP_4)
	v_add_nc_u32_e32 v42, s1, v18
	v_add_nc_u32_e32 v46, s1, v19
	ds_load_b128 v[17:20], v17 offset:1024
	ds_load_b128 v[30:33], v0 offset:32368
	;; [unrolled: 1-line block ×4, first 2 shown]
	v_lshrrev_b32_e32 v0, 2, v12
	s_delay_alu instid0(VALU_DEP_1) | instskip(NEXT) | instid1(VALU_DEP_1)
	v_and_b32_e32 v0, 0x3f0, v0
	v_add_nc_u32_e32 v0, s1, v0
	s_wait_dscnt 0x2
	v_mul_f64_e32 v[46:47], v[32:33], v[19:20]
	v_mul_f64_e32 v[19:20], v[30:31], v[19:20]
	s_delay_alu instid0(VALU_DEP_2) | instskip(NEXT) | instid1(VALU_DEP_2)
	v_fma_f64 v[199:200], v[30:31], v[17:18], -v[46:47]
	v_fma_f64 v[201:202], v[32:33], v[17:18], v[19:20]
	v_and_b32_e32 v17, 63, v12
	s_delay_alu instid0(VALU_DEP_1) | instskip(SKIP_3) | instid1(VALU_DEP_1)
	v_lshl_add_u32 v17, v17, 4, 0
	ds_load_b128 v[17:20], v17 offset:32368
	ds_load_b128 v[30:33], v0 offset:1024
	v_add_nc_u32_e32 v0, v12, v1
	v_add_nc_u32_e32 v48, v0, v1
	v_lshrrev_b32_e32 v12, 2, v0
	s_delay_alu instid0(VALU_DEP_1) | instskip(NEXT) | instid1(VALU_DEP_1)
	v_and_b32_e32 v12, 0x3f0, v12
	v_add_nc_u32_e32 v12, s1, v12
	s_wait_dscnt 0x0
	v_mul_f64_e32 v[46:47], v[19:20], v[32:33]
	s_delay_alu instid0(VALU_DEP_1) | instskip(SKIP_1) | instid1(VALU_DEP_1)
	v_fma_f64 v[203:204], v[17:18], v[30:31], -v[46:47]
	v_mul_f64_e32 v[17:18], v[17:18], v[32:33]
	v_fma_f64 v[205:206], v[19:20], v[30:31], v[17:18]
	v_lshrrev_b32_e32 v17, 8, v0
	v_lshrrev_b32_e32 v18, 8, v48
	v_and_b32_e32 v0, 63, v0
	s_delay_alu instid0(VALU_DEP_3) | instskip(NEXT) | instid1(VALU_DEP_3)
	v_and_b32_e32 v17, 0x3f0, v17
	v_and_b32_e32 v18, 0x3f0, v18
	s_delay_alu instid0(VALU_DEP_3) | instskip(NEXT) | instid1(VALU_DEP_3)
	v_lshl_add_u32 v0, v0, 4, 0
	v_add_nc_u32_e32 v46, s1, v17
	s_delay_alu instid0(VALU_DEP_3)
	v_add_nc_u32_e32 v47, s1, v18
	ds_load_b128 v[17:20], v12 offset:1024
	ds_load_b128 v[30:33], v0 offset:32368
	ds_load_b128 v[89:92], v46 offset:2048
	ds_load_b128 v[101:104], v47 offset:2048
	v_lshrrev_b32_e32 v0, 2, v48
	v_and_b32_e32 v12, 63, v48
	s_delay_alu instid0(VALU_DEP_2) | instskip(NEXT) | instid1(VALU_DEP_2)
	v_and_b32_e32 v0, 0x3f0, v0
	v_lshl_add_u32 v12, v12, 4, 0
	s_delay_alu instid0(VALU_DEP_2) | instskip(SKIP_3) | instid1(VALU_DEP_2)
	v_add_nc_u32_e32 v0, s1, v0
	s_wait_dscnt 0x2
	v_mul_f64_e32 v[46:47], v[32:33], v[19:20]
	v_mul_f64_e32 v[19:20], v[30:31], v[19:20]
	v_fma_f64 v[207:208], v[30:31], v[17:18], -v[46:47]
	s_delay_alu instid0(VALU_DEP_2) | instskip(SKIP_3) | instid1(VALU_DEP_1)
	v_fma_f64 v[209:210], v[32:33], v[17:18], v[19:20]
	ds_load_b128 v[17:20], v12 offset:32368
	ds_load_b128 v[30:33], v0 offset:1024
	v_add_nc_u32_e32 v0, v48, v1
	v_add_nc_u32_e32 v48, v0, v1
	v_lshrrev_b32_e32 v12, 2, v0
	s_delay_alu instid0(VALU_DEP_1) | instskip(NEXT) | instid1(VALU_DEP_1)
	v_and_b32_e32 v12, 0x3f0, v12
	v_add_nc_u32_e32 v12, s1, v12
	s_wait_dscnt 0x0
	v_mul_f64_e32 v[46:47], v[19:20], v[32:33]
	s_delay_alu instid0(VALU_DEP_1) | instskip(SKIP_1) | instid1(VALU_DEP_1)
	v_fma_f64 v[211:212], v[17:18], v[30:31], -v[46:47]
	v_mul_f64_e32 v[17:18], v[17:18], v[32:33]
	v_fma_f64 v[213:214], v[19:20], v[30:31], v[17:18]
	v_lshrrev_b32_e32 v17, 8, v0
	v_lshrrev_b32_e32 v18, 8, v48
	v_and_b32_e32 v0, 63, v0
	s_delay_alu instid0(VALU_DEP_3) | instskip(NEXT) | instid1(VALU_DEP_3)
	v_and_b32_e32 v17, 0x3f0, v17
	v_and_b32_e32 v18, 0x3f0, v18
	s_delay_alu instid0(VALU_DEP_3) | instskip(NEXT) | instid1(VALU_DEP_3)
	v_lshl_add_u32 v0, v0, 4, 0
	v_add_nc_u32_e32 v46, s1, v17
	s_delay_alu instid0(VALU_DEP_3)
	v_add_nc_u32_e32 v47, s1, v18
	ds_load_b128 v[17:20], v12 offset:1024
	ds_load_b128 v[30:33], v0 offset:32368
	ds_load_b128 v[111:114], v46 offset:2048
	ds_load_b128 v[119:122], v47 offset:2048
	v_lshrrev_b32_e32 v0, 2, v48
	v_and_b32_e32 v12, 63, v48
	s_delay_alu instid0(VALU_DEP_2) | instskip(NEXT) | instid1(VALU_DEP_2)
	v_and_b32_e32 v0, 0x3f0, v0
	v_lshl_add_u32 v12, v12, 4, 0
	s_delay_alu instid0(VALU_DEP_2) | instskip(SKIP_3) | instid1(VALU_DEP_2)
	v_add_nc_u32_e32 v0, s1, v0
	s_wait_dscnt 0x2
	v_mul_f64_e32 v[46:47], v[32:33], v[19:20]
	v_mul_f64_e32 v[19:20], v[30:31], v[19:20]
	v_fma_f64 v[215:216], v[30:31], v[17:18], -v[46:47]
	s_delay_alu instid0(VALU_DEP_2) | instskip(SKIP_3) | instid1(VALU_DEP_1)
	v_fma_f64 v[217:218], v[32:33], v[17:18], v[19:20]
	;; [unrolled: 42-line block ×3, first 2 shown]
	ds_load_b128 v[17:20], v12 offset:32368
	ds_load_b128 v[30:33], v0 offset:1024
	v_add_nc_u32_e32 v0, v48, v1
	v_lshrrev_b32_e32 v12, 2, v0
	s_delay_alu instid0(VALU_DEP_1) | instskip(NEXT) | instid1(VALU_DEP_1)
	v_and_b32_e32 v12, 0x3f0, v12
	v_add_nc_u32_e32 v12, s1, v12
	s_wait_dscnt 0x0
	v_mul_f64_e32 v[46:47], v[19:20], v[32:33]
	s_delay_alu instid0(VALU_DEP_1) | instskip(SKIP_4) | instid1(VALU_DEP_2)
	v_fma_f64 v[227:228], v[17:18], v[30:31], -v[46:47]
	v_mul_f64_e32 v[17:18], v[17:18], v[32:33]
	v_add_nc_u32_e32 v46, v0, v1
	v_lshrrev_b32_e32 v1, 8, v0
	v_and_b32_e32 v0, 63, v0
	v_and_b32_e32 v1, 0x3f0, v1
	s_delay_alu instid0(VALU_DEP_2) | instskip(NEXT) | instid1(VALU_DEP_2)
	v_lshl_add_u32 v0, v0, 4, 0
	v_add_nc_u32_e32 v1, s1, v1
	v_fma_f64 v[229:230], v[19:20], v[30:31], v[17:18]
	v_lshrrev_b32_e32 v17, 8, v46
	s_delay_alu instid0(VALU_DEP_1) | instskip(NEXT) | instid1(VALU_DEP_1)
	v_and_b32_e32 v17, 0x3f0, v17
	v_add_nc_u32_e32 v47, s1, v17
	ds_load_b128 v[17:20], v12 offset:1024
	ds_load_b128 v[30:33], v0 offset:32368
	;; [unrolled: 1-line block ×4, first 2 shown]
	v_lshrrev_b32_e32 v12, 2, v46
	s_delay_alu instid0(VALU_DEP_1) | instskip(NEXT) | instid1(VALU_DEP_1)
	v_and_b32_e32 v12, 0x3f0, v12
	v_add_nc_u32_e32 v12, s1, v12
	s_mul_i32 s1, s62, s20
	s_wait_alu 0xfffe
	s_add_co_i32 s1, s1, s4
	s_wait_dscnt 0x2
	v_mul_f64_e32 v[0:1], v[32:33], v[19:20]
	v_mul_f64_e32 v[19:20], v[30:31], v[19:20]
	s_delay_alu instid0(VALU_DEP_2) | instskip(NEXT) | instid1(VALU_DEP_2)
	v_fma_f64 v[0:1], v[30:31], v[17:18], -v[0:1]
	v_fma_f64 v[231:232], v[32:33], v[17:18], v[19:20]
	v_and_b32_e32 v17, 63, v46
	s_delay_alu instid0(VALU_DEP_1) | instskip(SKIP_3) | instid1(VALU_DEP_1)
	v_lshl_add_u32 v17, v17, 4, 0
	ds_load_b128 v[17:20], v17 offset:32368
	ds_load_b128 v[30:33], v12 offset:1024
	v_mul_u32_u24_e32 v12, 0x70, v59
	v_add3_u32 v12, 0, v12, v29
	s_wait_dscnt 0x0
	v_mul_f64_e32 v[46:47], v[19:20], v[32:33]
	s_delay_alu instid0(VALU_DEP_1) | instskip(SKIP_2) | instid1(VALU_DEP_2)
	v_fma_f64 v[233:234], v[17:18], v[30:31], -v[46:47]
	v_mul_f64_e32 v[17:18], v[17:18], v[32:33]
	v_lshlrev_b32_e32 v33, 8, v255
	v_fma_f64 v[235:236], v[19:20], v[30:31], v[17:18]
	global_load_b128 v[29:32], v33, s[22:23]
	ds_load_b128 v[46:49], v12 offset:1904
	ds_load_b128 v[17:20], v12
	global_load_b128 v[53:56], v33, s[22:23] offset:16
	s_wait_loadcnt_dscnt 0x101
	v_mul_f64_e32 v[50:51], v[48:49], v[31:32]
	v_mul_f64_e32 v[31:32], v[46:47], v[31:32]
	s_delay_alu instid0(VALU_DEP_2) | instskip(NEXT) | instid1(VALU_DEP_2)
	v_fma_f64 v[97:98], v[46:47], v[29:30], v[50:51]
	v_fma_f64 v[99:100], v[48:49], v[29:30], -v[31:32]
	s_clause 0x1
	global_load_b128 v[29:32], v33, s[22:23] offset:240
	global_load_b128 v[57:60], v33, s[22:23] offset:224
	ds_load_b128 v[65:68], v12 offset:30464
	v_mul_f64_e32 v[49:50], v[217:218], v[113:114]
	s_wait_loadcnt_dscnt 0x100
	v_mul_f64_e32 v[46:47], v[67:68], v[31:32]
	v_mul_f64_e32 v[31:32], v[65:66], v[31:32]
	s_delay_alu instid0(VALU_DEP_2) | instskip(NEXT) | instid1(VALU_DEP_2)
	v_fma_f64 v[61:62], v[65:66], v[29:30], v[46:47]
	v_fma_f64 v[83:84], v[67:68], v[29:30], -v[31:32]
	ds_load_b128 v[29:32], v12 offset:3808
	ds_load_b128 v[133:136], v12 offset:5712
	s_wait_dscnt 0x1
	v_mul_f64_e32 v[46:47], v[31:32], v[55:56]
	s_delay_alu instid0(VALU_DEP_1) | instskip(SKIP_1) | instid1(VALU_DEP_1)
	v_fma_f64 v[109:110], v[29:30], v[53:54], v[46:47]
	v_mul_f64_e32 v[29:30], v[29:30], v[55:56]
	v_fma_f64 v[141:142], v[31:32], v[53:54], -v[29:30]
	ds_load_b128 v[29:32], v12 offset:28560
	ds_load_b128 v[157:160], v12 offset:26656
	s_wait_loadcnt_dscnt 0x1
	v_mul_f64_e32 v[46:47], v[31:32], v[59:60]
	s_delay_alu instid0(VALU_DEP_1) | instskip(SKIP_2) | instid1(VALU_DEP_2)
	v_fma_f64 v[55:56], v[29:30], v[57:58], v[46:47]
	v_mul_f64_e32 v[29:30], v[29:30], v[59:60]
	v_add_f64_e64 v[59:60], v[99:100], -v[83:84]
	v_fma_f64 v[57:58], v[31:32], v[57:58], -v[29:30]
	global_load_b128 v[29:32], v33, s[22:23] offset:112
	ds_load_b128 v[71:74], v12 offset:15232
	ds_load_b128 v[75:78], v12 offset:17136
	global_load_b128 v[79:82], v33, s[22:23] offset:96
	s_wait_loadcnt_dscnt 0x101
	v_mul_f64_e32 v[46:47], v[73:74], v[31:32]
	v_mul_f64_e32 v[31:32], v[71:72], v[31:32]
	s_delay_alu instid0(VALU_DEP_2) | instskip(NEXT) | instid1(VALU_DEP_2)
	v_fma_f64 v[249:250], v[71:72], v[29:30], v[46:47]
	v_fma_f64 v[71:72], v[73:74], v[29:30], -v[31:32]
	s_clause 0x1
	global_load_b128 v[29:32], v33, s[22:23] offset:128
	global_load_b128 v[93:96], v33, s[22:23] offset:144
	s_wait_loadcnt_dscnt 0x100
	v_mul_f64_e32 v[46:47], v[77:78], v[31:32]
	v_mul_f64_e32 v[31:32], v[75:76], v[31:32]
	s_delay_alu instid0(VALU_DEP_2) | instskip(NEXT) | instid1(VALU_DEP_2)
	v_fma_f64 v[73:74], v[75:76], v[29:30], v[46:47]
	v_fma_f64 v[75:76], v[77:78], v[29:30], -v[31:32]
	ds_load_b128 v[29:32], v12 offset:13328
	ds_load_b128 v[105:108], v12 offset:11424
	s_wait_dscnt 0x1
	v_mul_f64_e32 v[46:47], v[31:32], v[81:82]
	s_delay_alu instid0(VALU_DEP_1) | instskip(SKIP_1) | instid1(VALU_DEP_1)
	v_fma_f64 v[77:78], v[29:30], v[79:80], v[46:47]
	v_mul_f64_e32 v[29:30], v[29:30], v[81:82]
	v_fma_f64 v[81:82], v[31:32], v[79:80], -v[29:30]
	ds_load_b128 v[29:32], v12 offset:19040
	ds_load_b128 v[115:118], v12 offset:20944
	s_wait_loadcnt_dscnt 0x1
	v_mul_f64_e32 v[46:47], v[31:32], v[95:96]
	s_delay_alu instid0(VALU_DEP_1) | instskip(SKIP_1) | instid1(VALU_DEP_1)
	v_fma_f64 v[79:80], v[29:30], v[93:94], v[46:47]
	v_mul_f64_e32 v[29:30], v[29:30], v[95:96]
	v_fma_f64 v[93:94], v[31:32], v[93:94], -v[29:30]
	s_clause 0x1
	global_load_b128 v[29:32], v33, s[22:23] offset:80
	global_load_b128 v[123:126], v33, s[22:23] offset:64
	s_wait_loadcnt 0x1
	v_mul_f64_e32 v[46:47], v[107:108], v[31:32]
	v_mul_f64_e32 v[31:32], v[105:106], v[31:32]
	s_delay_alu instid0(VALU_DEP_2) | instskip(NEXT) | instid1(VALU_DEP_2)
	v_fma_f64 v[251:252], v[105:106], v[29:30], v[46:47]
	v_fma_f64 v[253:254], v[107:108], v[29:30], -v[31:32]
	s_clause 0x1
	global_load_b128 v[29:32], v33, s[22:23] offset:160
	global_load_b128 v[137:140], v33, s[22:23] offset:176
	s_wait_loadcnt_dscnt 0x100
	v_mul_f64_e32 v[46:47], v[117:118], v[31:32]
	v_mul_f64_e32 v[31:32], v[115:116], v[31:32]
	s_delay_alu instid0(VALU_DEP_2) | instskip(NEXT) | instid1(VALU_DEP_2)
	v_fma_f64 v[95:96], v[115:116], v[29:30], v[46:47]
	v_fma_f64 v[107:108], v[117:118], v[29:30], -v[31:32]
	ds_load_b128 v[29:32], v12 offset:9520
	ds_load_b128 v[151:154], v12 offset:7616
	s_wait_dscnt 0x1
	v_mul_f64_e32 v[46:47], v[31:32], v[125:126]
	s_delay_alu instid0(VALU_DEP_1) | instskip(SKIP_1) | instid1(VALU_DEP_1)
	v_fma_f64 v[175:176], v[29:30], v[123:124], v[46:47]
	v_mul_f64_e32 v[29:30], v[29:30], v[125:126]
	v_fma_f64 v[123:124], v[31:32], v[123:124], -v[29:30]
	ds_load_b128 v[29:32], v12 offset:22848
	ds_load_b128 v[125:128], v12 offset:24752
	s_wait_loadcnt_dscnt 0x1
	v_mul_f64_e32 v[46:47], v[31:32], v[139:140]
	s_delay_alu instid0(VALU_DEP_1) | instskip(SKIP_1) | instid1(VALU_DEP_1)
	v_fma_f64 v[115:116], v[29:30], v[137:138], v[46:47]
	v_mul_f64_e32 v[29:30], v[29:30], v[139:140]
	v_fma_f64 v[117:118], v[31:32], v[137:138], -v[29:30]
	s_clause 0x1
	global_load_b128 v[29:32], v33, s[22:23] offset:48
	global_load_b128 v[161:164], v33, s[22:23] offset:32
	s_wait_loadcnt 0x1
	v_mul_f64_e32 v[46:47], v[153:154], v[31:32]
	v_mul_f64_e32 v[31:32], v[151:152], v[31:32]
	s_delay_alu instid0(VALU_DEP_2) | instskip(NEXT) | instid1(VALU_DEP_2)
	v_fma_f64 v[139:140], v[151:152], v[29:30], v[46:47]
	v_fma_f64 v[153:154], v[153:154], v[29:30], -v[31:32]
	s_clause 0x1
	global_load_b128 v[29:32], v33, s[22:23] offset:192
	global_load_b128 v[169:172], v33, s[22:23] offset:208
	s_wait_loadcnt_dscnt 0x100
	v_mul_f64_e32 v[46:47], v[127:128], v[31:32]
	v_mul_f64_e32 v[31:32], v[125:126], v[31:32]
	s_delay_alu instid0(VALU_DEP_2) | instskip(NEXT) | instid1(VALU_DEP_2)
	v_fma_f64 v[137:138], v[125:126], v[29:30], v[46:47]
	v_fma_f64 v[125:126], v[127:128], v[29:30], -v[31:32]
	v_mul_f64_e32 v[29:30], v[135:136], v[163:164]
	v_mul_f64_e32 v[31:32], v[179:180], v[40:41]
	;; [unrolled: 1-line block ×3, first 2 shown]
	s_delay_alu instid0(VALU_DEP_4) | instskip(NEXT) | instid1(VALU_DEP_4)
	v_add_f64_e32 v[113:114], v[153:154], v[125:126]
	v_fma_f64 v[177:178], v[133:134], v[161:162], v[29:30]
	v_mul_f64_e32 v[29:30], v[133:134], v[163:164]
	v_fma_f64 v[67:68], v[38:39], v[181:182], v[31:32]
	s_delay_alu instid0(VALU_DEP_2) | instskip(SKIP_3) | instid1(VALU_DEP_2)
	v_fma_f64 v[247:248], v[135:136], v[161:162], -v[29:30]
	s_wait_loadcnt 0x0
	v_mul_f64_e32 v[29:30], v[159:160], v[171:172]
	v_add_f64_e32 v[135:136], v[253:254], v[107:108]
	v_fma_f64 v[105:106], v[157:158], v[169:170], v[29:30]
	v_mul_f64_e32 v[29:30], v[157:158], v[171:172]
	s_delay_alu instid0(VALU_DEP_1) | instskip(SKIP_2) | instid1(VALU_DEP_3)
	v_fma_f64 v[127:128], v[159:160], v[169:170], -v[29:30]
	v_mul_f64_e32 v[29:30], v[69:70], v[27:28]
	v_mul_f64_e32 v[27:28], v[63:64], v[27:28]
	v_add_f64_e64 v[31:32], v[247:248], -v[127:128]
	s_delay_alu instid0(VALU_DEP_3) | instskip(NEXT) | instid1(VALU_DEP_3)
	v_fma_f64 v[65:66], v[25:26], v[63:64], -v[29:30]
	v_fma_f64 v[169:170], v[25:26], v[69:70], v[27:28]
	v_mul_f64_e32 v[27:28], v[181:182], v[40:41]
	v_add_f64_e64 v[25:26], v[153:154], -v[125:126]
	v_add_f64_e64 v[29:30], v[123:124], -v[117:118]
	s_delay_alu instid0(VALU_DEP_3) | instskip(SKIP_4) | instid1(VALU_DEP_4)
	v_fma_f64 v[171:172], v[38:39], v[179:180], -v[27:28]
	v_mul_f64_e32 v[38:39], v[185:186], v[8:9]
	v_mul_f64_e32 v[8:9], v[183:184], v[8:9]
	v_add_f64_e64 v[27:28], v[139:140], -v[137:138]
	v_mul_f64_e32 v[133:134], s[44:45], v[25:26]
	v_fma_f64 v[237:238], v[6:7], v[183:184], -v[38:39]
	s_delay_alu instid0(VALU_DEP_4)
	v_fma_f64 v[239:240], v[6:7], v[185:186], v[8:9]
	v_mul_f64_e32 v[8:9], v[189:190], v[4:5]
	v_mul_f64_e32 v[4:5], v[187:188], v[4:5]
	;; [unrolled: 1-line block ×3, first 2 shown]
	v_add_f64_e64 v[6:7], v[81:82], -v[93:94]
	v_mul_f64_e32 v[185:186], s[56:57], v[29:30]
	v_fma_f64 v[53:54], v[2:3], v[187:188], -v[8:9]
	v_fma_f64 v[51:52], v[2:3], v[189:190], v[4:5]
	v_mul_f64_e32 v[4:5], v[193:194], v[36:37]
	v_fma_f64 v[245:246], v[89:90], v[209:210], v[39:40]
	v_add_f64_e64 v[8:9], v[251:252], -v[95:96]
	v_mul_f64_e32 v[189:190], s[36:37], v[25:26]
	s_delay_alu instid0(VALU_DEP_4) | instskip(SKIP_4) | instid1(VALU_DEP_4)
	v_fma_f64 v[157:158], v[34:35], v[191:192], -v[4:5]
	v_mul_f64_e32 v[4:5], v[191:192], v[36:37]
	v_mul_f64_e32 v[37:38], v[205:206], v[87:88]
	;; [unrolled: 1-line block ×4, first 2 shown]
	v_fma_f64 v[159:160], v[34:35], v[193:194], v[4:5]
	v_mul_f64_e32 v[4:5], v[197:198], v[15:16]
	v_fma_f64 v[243:244], v[85:86], v[203:204], -v[37:38]
	v_add_f64_e64 v[37:38], v[97:98], -v[61:62]
	v_add_f64_e64 v[33:34], v[141:142], -v[57:58]
	v_mul_f64_e32 v[193:194], s[30:31], v[31:32]
	v_fma_f64 v[69:70], v[13:14], v[195:196], -v[4:5]
	v_mul_f64_e32 v[4:5], v[195:196], v[15:16]
	s_delay_alu instid0(VALU_DEP_1)
	v_fma_f64 v[63:64], v[13:14], v[197:198], v[4:5]
	v_mul_f64_e32 v[12:13], v[199:200], v[44:45]
	v_mul_f64_e32 v[14:15], v[201:202], v[44:45]
	;; [unrolled: 1-line block ×3, first 2 shown]
	v_add_f64_e64 v[4:5], v[71:72], -v[75:76]
	v_mul_f64_e32 v[197:198], s[40:41], v[33:34]
	v_fma_f64 v[151:152], v[42:43], v[201:202], v[12:13]
	v_fma_f64 v[155:156], v[42:43], v[199:200], -v[14:15]
	v_mul_f64_e32 v[43:44], v[211:212], v[103:104]
	v_mul_f64_e32 v[14:15], v[203:204], v[87:88]
	;; [unrolled: 1-line block ×3, first 2 shown]
	v_add_f64_e32 v[91:92], v[141:142], v[57:58]
	v_add_f64_e32 v[103:104], v[109:110], v[55:56]
	v_add_f64_e64 v[12:13], v[253:254], -v[107:108]
	v_mul_f64_e32 v[203:204], s[42:43], v[37:38]
	v_mul_f64_e32 v[199:200], s[42:43], v[59:60]
	;; [unrolled: 1-line block ×4, first 2 shown]
	v_fma_f64 v[2:3], v[101:102], v[213:214], v[43:44]
	v_fma_f64 v[241:242], v[85:86], v[205:206], v[14:15]
	v_mul_f64_e32 v[85:86], v[0:1], v[131:132]
	v_fma_f64 v[207:208], v[89:90], v[207:208], -v[41:42]
	v_add_f64_e32 v[89:90], v[99:100], v[83:84]
	v_add_f64_e64 v[14:15], v[175:176], -v[115:116]
	v_mul_f64_e32 v[181:182], s[52:53], v[12:13]
	v_mul_f64_e32 v[43:44], s[50:51], v[6:7]
	;; [unrolled: 1-line block ×3, first 2 shown]
	scratch_store_b64 off, v[2:3], off offset:704 ; 8-byte Folded Spill
	v_fma_f64 v[2:3], v[101:102], v[211:212], -v[45:46]
	v_add_f64_e32 v[101:102], v[97:98], v[61:62]
	v_mul_f64_e32 v[45:46], s[58:59], v[27:28]
	v_mul_f64_e32 v[187:188], s[56:57], v[14:15]
	;; [unrolled: 1-line block ×3, first 2 shown]
	scratch_store_b64 off, v[2:3], off offset:696 ; 8-byte Folded Spill
	v_fma_f64 v[2:3], v[111:112], v[217:218], v[47:48]
	v_mul_f64_e32 v[217:218], s[58:59], v[6:7]
	v_mul_f64_e32 v[47:48], s[36:37], v[12:13]
	scratch_store_b64 off, v[2:3], off offset:600 ; 8-byte Folded Spill
	v_fma_f64 v[2:3], v[111:112], v[215:216], -v[49:50]
	v_mul_f64_e32 v[215:216], s[50:51], v[4:5]
	scratch_store_b64 off, v[2:3], off offset:592 ; 8-byte Folded Spill
	v_fma_f64 v[2:3], v[129:130], v[231:232], v[85:86]
	v_mul_f64_e32 v[85:86], v[231:232], v[131:132]
	v_mul_f64_e32 v[131:132], s[36:37], v[29:30]
	s_delay_alu instid0(VALU_DEP_2) | instskip(SKIP_3) | instid1(VALU_DEP_1)
	v_fma_f64 v[0:1], v[129:130], v[0:1], -v[85:86]
	v_add_f64_e32 v[129:130], v[175:176], v[115:116]
	scratch_store_b64 off, v[0:1], off offset:424 ; 8-byte Folded Spill
	v_mul_f64_e32 v[0:1], v[233:234], v[149:150]
	v_fma_f64 v[0:1], v[147:148], v[235:236], v[0:1]
	scratch_store_b64 off, v[0:1], off offset:204 ; 8-byte Folded Spill
	v_mul_f64_e32 v[0:1], v[235:236], v[149:150]
	v_mul_f64_e32 v[235:236], s[36:37], v[33:34]
	v_mul_f64_e32 v[149:150], s[50:51], v[31:32]
	s_delay_alu instid0(VALU_DEP_3) | instskip(SKIP_4) | instid1(VALU_DEP_1)
	v_fma_f64 v[0:1], v[147:148], v[233:234], -v[0:1]
	v_add_f64_e32 v[147:148], v[249:250], v[73:74]
	v_mul_f64_e32 v[233:234], s[40:41], v[59:60]
	scratch_store_b64 off, v[0:1], off offset:196 ; 8-byte Folded Spill
	v_mul_f64_e32 v[0:1], v[23:24], v[173:174]
	v_fma_f64 v[0:1], v[21:22], v[10:11], v[0:1]
	scratch_store_b64 off, v[0:1], off offset:156 ; 8-byte Folded Spill
	v_mul_f64_e32 v[0:1], v[23:24], v[10:11]
	s_delay_alu instid0(VALU_DEP_1) | instskip(SKIP_3) | instid1(VALU_DEP_1)
	v_fma_f64 v[0:1], v[21:22], v[173:174], -v[0:1]
	v_mul_f64_e32 v[173:174], s[28:29], v[59:60]
	scratch_store_b64 off, v[0:1], off offset:148 ; 8-byte Folded Spill
	v_mul_f64_e32 v[0:1], v[219:220], v[121:122]
	v_fma_f64 v[0:1], v[119:120], v[221:222], v[0:1]
	scratch_store_b64 off, v[0:1], off offset:140 ; 8-byte Folded Spill
	v_mul_f64_e32 v[0:1], v[221:222], v[121:122]
	v_add_f64_e32 v[121:122], v[139:140], v[137:138]
	v_mul_f64_e32 v[221:222], s[44:45], v[29:30]
	s_delay_alu instid0(VALU_DEP_3) | instskip(SKIP_3) | instid1(VALU_DEP_1)
	v_fma_f64 v[0:1], v[119:120], v[219:220], -v[0:1]
	v_add_f64_e32 v[119:120], v[123:124], v[117:118]
	scratch_store_b64 off, v[0:1], off offset:132 ; 8-byte Folded Spill
	v_mul_f64_e32 v[0:1], v[223:224], v[145:146]
	v_fma_f64 v[0:1], v[143:144], v[225:226], v[0:1]
	scratch_store_b64 off, v[0:1], off offset:124 ; 8-byte Folded Spill
	v_mul_f64_e32 v[0:1], v[225:226], v[145:146]
	v_add_f64_e32 v[145:146], v[77:78], v[79:80]
	s_delay_alu instid0(VALU_DEP_2) | instskip(SKIP_4) | instid1(VALU_DEP_1)
	v_fma_f64 v[0:1], v[143:144], v[223:224], -v[0:1]
	v_add_f64_e32 v[143:144], v[81:82], v[93:94]
	v_mul_f64_e32 v[223:224], s[48:49], v[25:26]
	scratch_store_b64 off, v[0:1], off offset:116 ; 8-byte Folded Spill
	v_mul_f64_e32 v[0:1], v[227:228], v[167:168]
	v_fma_f64 v[0:1], v[165:166], v[229:230], v[0:1]
	s_clause 0x1
	scratch_store_b64 off, v[2:3], off offset:432
	scratch_store_b64 off, v[0:1], off offset:108
	v_mul_f64_e32 v[0:1], v[229:230], v[167:168]
	v_mul_f64_e32 v[229:230], s[36:37], v[4:5]
	s_delay_alu instid0(VALU_DEP_2)
	v_fma_f64 v[0:1], v[165:166], v[227:228], -v[0:1]
	s_clause 0x2
	scratch_store_b64 off, v[0:1], off offset:100
	scratch_store_b64 off, v[61:62], off offset:172
	scratch_store_b64 off, v[97:98], off offset:264
	v_mul_f64_e32 v[0:1], s[38:39], v[37:38]
	v_add_f64_e64 v[165:166], v[109:110], -v[55:56]
	s_clause 0x1
	scratch_store_b64 off, v[83:84], off offset:164
	scratch_store_b64 off, v[99:100], off offset:232
	v_mul_f64_e32 v[227:228], s[34:35], v[6:7]
	v_mul_f64_e32 v[99:100], s[54:55], v[8:9]
	;; [unrolled: 1-line block ×5, first 2 shown]
	scratch_store_b64 off, v[0:1], off offset:528 ; 8-byte Folded Spill
	v_fma_f64 v[10:11], v[89:90], s[10:11], v[0:1]
	v_mul_f64_e32 v[0:1], s[42:43], v[165:166]
	s_clause 0x3
	scratch_store_b64 off, v[55:56], off offset:188
	scratch_store_b64 off, v[109:110], off offset:312
	;; [unrolled: 1-line block ×4, first 2 shown]
	v_mul_f64_e32 v[201:202], s[40:41], v[165:166]
	v_mul_f64_e32 v[225:226], s[36:37], v[165:166]
	;; [unrolled: 1-line block ×5, first 2 shown]
	v_add_f64_e32 v[10:11], v[19:20], v[10:11]
	scratch_store_b64 off, v[0:1], off offset:536 ; 8-byte Folded Spill
	v_fma_f64 v[21:22], v[91:92], s[12:13], v[0:1]
	v_mul_f64_e32 v[0:1], s[38:39], v[59:60]
	s_delay_alu instid0(VALU_DEP_2) | instskip(SKIP_3) | instid1(VALU_DEP_2)
	v_add_f64_e32 v[10:11], v[21:22], v[10:11]
	scratch_store_b64 off, v[0:1], off offset:560 ; 8-byte Folded Spill
	v_fma_f64 v[21:22], v[101:102], s[10:11], -v[0:1]
	v_mul_f64_e32 v[0:1], s[42:43], v[33:34]
	v_add_f64_e32 v[21:22], v[17:18], v[21:22]
	scratch_store_b64 off, v[0:1], off offset:568 ; 8-byte Folded Spill
	v_fma_f64 v[23:24], v[103:104], s[12:13], -v[0:1]
	v_dual_mov_b32 v0, v105 :: v_dual_mov_b32 v1, v106
	v_add_f64_e32 v[105:106], v[247:248], v[127:128]
	s_clause 0x1
	scratch_store_b64 off, v[0:1], off offset:224
	scratch_store_b64 off, v[177:178], off offset:368
	v_add_f64_e64 v[35:36], v[177:178], -v[0:1]
	v_add_f64_e32 v[111:112], v[177:178], v[0:1]
	v_mul_f64_e32 v[0:1], s[44:45], v[31:32]
	v_mul_f64_e32 v[177:178], s[46:47], v[6:7]
	v_add_f64_e32 v[21:22], v[23:24], v[21:22]
	v_mul_f64_e32 v[2:3], s[44:45], v[35:36]
	s_clause 0x1
	scratch_store_b64 off, v[127:128], off offset:212
	scratch_store_b64 off, v[0:1], off offset:632
	v_mul_f64_e32 v[195:196], s[30:31], v[35:36]
	v_mul_f64_e32 v[219:220], s[52:53], v[35:36]
	;; [unrolled: 1-line block ×4, first 2 shown]
	scratch_store_b64 off, v[2:3], off offset:608 ; 8-byte Folded Spill
	v_fma_f64 v[23:24], v[105:106], s[26:27], v[2:3]
	s_clause 0x3
	scratch_store_b64 off, v[137:138], off offset:280
	scratch_store_b64 off, v[139:140], off offset:456
	;; [unrolled: 1-line block ×4, first 2 shown]
	v_add_f64_e32 v[139:140], v[251:252], v[95:96]
	v_add_f64_e32 v[153:154], v[71:72], v[75:76]
	v_mul_f64_e32 v[137:138], s[56:57], v[165:166]
	v_mul_f64_e32 v[125:126], s[54:55], v[12:13]
	v_add_f64_e32 v[10:11], v[23:24], v[10:11]
	v_fma_f64 v[23:24], v[111:112], s[26:27], -v[0:1]
	v_mul_f64_e32 v[0:1], s[40:41], v[27:28]
	s_delay_alu instid0(VALU_DEP_2) | instskip(SKIP_3) | instid1(VALU_DEP_2)
	v_add_f64_e32 v[21:22], v[23:24], v[21:22]
	scratch_store_b64 off, v[0:1], off offset:640 ; 8-byte Folded Spill
	v_fma_f64 v[23:24], v[113:114], s[8:9], v[0:1]
	v_mul_f64_e32 v[0:1], s[40:41], v[25:26]
	v_add_f64_e32 v[10:11], v[23:24], v[10:11]
	scratch_store_b64 off, v[0:1], off offset:648 ; 8-byte Folded Spill
	v_fma_f64 v[23:24], v[121:122], s[8:9], -v[0:1]
	v_mul_f64_e32 v[0:1], s[28:29], v[14:15]
	s_clause 0x3
	scratch_store_b64 off, v[115:116], off offset:400
	scratch_store_b64 off, v[175:176], off offset:488
	;; [unrolled: 1-line block ×4, first 2 shown]
	v_mul_f64_e32 v[175:176], s[48:49], v[4:5]
	v_fma_f64 v[115:116], v[135:136], s[6:7], v[209:210]
	v_mul_f64_e32 v[123:124], s[44:45], v[27:28]
	v_mul_f64_e32 v[117:118], s[38:39], v[6:7]
	v_add_f64_e32 v[21:22], v[23:24], v[21:22]
	scratch_store_b64 off, v[0:1], off offset:656 ; 8-byte Folded Spill
	v_fma_f64 v[23:24], v[119:120], s[16:17], v[0:1]
	v_mul_f64_e32 v[0:1], s[28:29], v[29:30]
	s_delay_alu instid0(VALU_DEP_2)
	v_add_f64_e32 v[10:11], v[23:24], v[10:11]
	scratch_store_b64 off, v[0:1], off offset:664 ; 8-byte Folded Spill
	v_fma_f64 v[23:24], v[129:130], s[16:17], -v[0:1]
	v_mul_f64_e32 v[0:1], s[30:31], v[8:9]
	s_clause 0x3
	scratch_store_b64 off, v[95:96], off offset:480
	scratch_store_b64 off, v[251:252], off offset:512
	;; [unrolled: 1-line block ×4, first 2 shown]
	v_mul_f64_e32 v[253:254], s[48:49], v[27:28]
	v_mul_f64_e32 v[107:108], s[36:37], v[14:15]
	;; [unrolled: 1-line block ×3, first 2 shown]
	v_add_f64_e32 v[21:22], v[23:24], v[21:22]
	scratch_store_b64 off, v[0:1], off offset:672 ; 8-byte Folded Spill
	v_fma_f64 v[23:24], v[135:136], s[24:25], v[0:1]
	v_mul_f64_e32 v[0:1], s[30:31], v[12:13]
	s_delay_alu instid0(VALU_DEP_2)
	v_add_f64_e32 v[10:11], v[23:24], v[10:11]
	scratch_store_b64 off, v[0:1], off offset:680 ; 8-byte Folded Spill
	v_fma_f64 v[23:24], v[139:140], s[24:25], -v[0:1]
	v_add_f64_e64 v[0:1], v[77:78], -v[79:80]
	s_clause 0x3
	scratch_store_b64 off, v[77:78], off offset:552
	scratch_store_b64 off, v[79:80], off offset:520
	;; [unrolled: 1-line block ×4, first 2 shown]
	v_mul_f64_e32 v[81:82], s[38:39], v[35:36]
	v_mul_f64_e32 v[93:94], s[38:39], v[31:32]
	;; [unrolled: 1-line block ×4, first 2 shown]
	v_add_f64_e32 v[21:22], v[23:24], v[21:22]
	v_mul_f64_e32 v[2:3], s[34:35], v[0:1]
	v_mul_f64_e32 v[179:180], s[46:47], v[0:1]
	v_mul_f64_e32 v[251:252], s[58:59], v[0:1]
	s_delay_alu instid0(VALU_DEP_3)
	v_fma_f64 v[23:24], v[143:144], s[6:7], v[2:3]
	scratch_store_b64 off, v[2:3], off offset:688 ; 8-byte Folded Spill
	v_add_f64_e64 v[2:3], v[249:250], -v[73:74]
	s_clause 0x3
	scratch_store_b64 off, v[71:72], off offset:624
	scratch_store_b64 off, v[75:76], off offset:584
	;; [unrolled: 1-line block ×4, first 2 shown]
	v_fma_f64 v[75:76], v[103:104], s[8:9], -v[197:198]
	v_mul_f64_e32 v[249:250], s[34:35], v[12:13]
	v_mul_f64_e32 v[71:72], s[54:55], v[14:15]
	v_add_f64_e32 v[10:11], v[23:24], v[10:11]
	v_fma_f64 v[23:24], v[145:146], s[6:7], -v[227:228]
	v_mul_f64_e32 v[231:232], s[36:37], v[2:3]
	v_mul_f64_e32 v[161:162], s[48:49], v[2:3]
	;; [unrolled: 1-line block ×6, first 2 shown]
	v_add_f64_e32 v[21:22], v[23:24], v[21:22]
	v_fma_f64 v[23:24], v[147:148], s[18:19], -v[229:230]
	v_fma_f64 v[163:164], v[153:154], s[12:13], v[213:214]
	s_delay_alu instid0(VALU_DEP_2) | instskip(SKIP_1) | instid1(VALU_DEP_1)
	v_add_f64_e32 v[21:22], v[23:24], v[21:22]
	v_fma_f64 v[23:24], v[153:154], s[18:19], v[231:232]
	v_add_f64_e32 v[10:11], v[23:24], v[10:11]
	s_delay_alu instid0(VALU_DEP_3) | instskip(NEXT) | instid1(VALU_DEP_2)
	v_mul_f64_e32 v[23:24], v[21:22], v[169:170]
	v_mul_f64_e32 v[85:86], v[10:11], v[169:170]
	s_delay_alu instid0(VALU_DEP_2) | instskip(SKIP_2) | instid1(VALU_DEP_4)
	v_fma_f64 v[23:24], v[10:11], v[65:66], -v[23:24]
	v_mul_f64_e32 v[10:11], s[44:45], v[37:38]
	v_fma_f64 v[169:170], v[147:148], s[12:13], -v[215:216]
	v_fma_f64 v[21:22], v[21:22], v[65:66], v[85:86]
	v_fma_f64 v[65:66], v[91:92], s[8:9], v[201:202]
	scratch_store_b64 off, v[10:11], off offset:248 ; 8-byte Folded Spill
	v_mul_f64_e32 v[85:86], s[34:35], v[25:26]
	scratch_store_b128 off, v[21:24], off offset:4 ; 16-byte Folded Spill
	v_fma_f64 v[21:22], v[89:90], s[12:13], v[203:204]
	s_delay_alu instid0(VALU_DEP_1) | instskip(NEXT) | instid1(VALU_DEP_1)
	v_add_f64_e32 v[21:22], v[19:20], v[21:22]
	v_add_f64_e32 v[21:22], v[65:66], v[21:22]
	v_fma_f64 v[65:66], v[101:102], s[12:13], -v[199:200]
	s_delay_alu instid0(VALU_DEP_1) | instskip(NEXT) | instid1(VALU_DEP_1)
	v_add_f64_e32 v[65:66], v[17:18], v[65:66]
	v_add_f64_e32 v[65:66], v[75:76], v[65:66]
	v_fma_f64 v[75:76], v[105:106], s[24:25], v[195:196]
	s_delay_alu instid0(VALU_DEP_1) | instskip(SKIP_1) | instid1(VALU_DEP_1)
	v_add_f64_e32 v[21:22], v[75:76], v[21:22]
	v_fma_f64 v[75:76], v[111:112], s[24:25], -v[193:194]
	v_add_f64_e32 v[65:66], v[75:76], v[65:66]
	v_fma_f64 v[75:76], v[113:114], s[18:19], v[191:192]
	s_delay_alu instid0(VALU_DEP_1) | instskip(SKIP_1) | instid1(VALU_DEP_1)
	v_add_f64_e32 v[21:22], v[75:76], v[21:22]
	v_fma_f64 v[75:76], v[121:122], s[18:19], -v[189:190]
	;; [unrolled: 5-line block ×5, first 2 shown]
	v_add_f64_e32 v[65:66], v[75:76], v[65:66]
	v_fma_f64 v[75:76], v[147:148], s[10:11], -v[175:176]
	s_delay_alu instid0(VALU_DEP_1) | instskip(SKIP_1) | instid1(VALU_DEP_1)
	v_add_f64_e32 v[65:66], v[75:76], v[65:66]
	v_fma_f64 v[75:76], v[153:154], s[10:11], v[161:162]
	v_add_f64_e32 v[21:22], v[75:76], v[21:22]
	s_delay_alu instid0(VALU_DEP_3) | instskip(NEXT) | instid1(VALU_DEP_2)
	v_mul_f64_e32 v[75:76], v[65:66], v[67:68]
	v_mul_f64_e32 v[67:68], v[21:22], v[67:68]
	s_delay_alu instid0(VALU_DEP_2) | instskip(NEXT) | instid1(VALU_DEP_2)
	v_fma_f64 v[23:24], v[21:22], v[171:172], -v[75:76]
	v_fma_f64 v[21:22], v[65:66], v[171:172], v[67:68]
	v_mul_f64_e32 v[171:172], s[56:57], v[33:34]
	scratch_store_b128 off, v[21:24], off offset:20 ; 16-byte Folded Spill
	v_fma_f64 v[21:22], v[89:90], s[26:27], v[10:11]
	v_mul_f64_e32 v[10:11], s[30:31], v[165:166]
	s_delay_alu instid0(VALU_DEP_2) | instskip(SKIP_4) | instid1(VALU_DEP_3)
	v_add_f64_e32 v[21:22], v[19:20], v[21:22]
	scratch_store_b64 off, v[10:11], off offset:240 ; 8-byte Folded Spill
	v_fma_f64 v[65:66], v[91:92], s[24:25], v[10:11]
	v_mul_f64_e32 v[10:11], s[44:45], v[59:60]
	v_mul_f64_e32 v[59:60], s[36:37], v[59:60]
	v_add_f64_e32 v[21:22], v[65:66], v[21:22]
	scratch_store_b64 off, v[10:11], off offset:304 ; 8-byte Folded Spill
	v_fma_f64 v[65:66], v[101:102], s[26:27], -v[10:11]
	v_mul_f64_e32 v[10:11], s[30:31], v[33:34]
	s_delay_alu instid0(VALU_DEP_2) | instskip(SKIP_3) | instid1(VALU_DEP_2)
	v_add_f64_e32 v[65:66], v[17:18], v[65:66]
	scratch_store_b64 off, v[10:11], off offset:288 ; 8-byte Folded Spill
	v_fma_f64 v[67:68], v[103:104], s[24:25], -v[10:11]
	v_mul_f64_e32 v[10:11], s[60:61], v[35:36]
	v_add_f64_e32 v[65:66], v[67:68], v[65:66]
	scratch_store_b64 off, v[10:11], off offset:296 ; 8-byte Folded Spill
	v_fma_f64 v[67:68], v[105:106], s[18:19], v[10:11]
	v_mul_f64_e32 v[10:11], s[60:61], v[31:32]
	s_delay_alu instid0(VALU_DEP_2) | instskip(SKIP_4) | instid1(VALU_DEP_3)
	v_add_f64_e32 v[21:22], v[67:68], v[21:22]
	scratch_store_b64 off, v[10:11], off offset:336 ; 8-byte Folded Spill
	v_fma_f64 v[67:68], v[111:112], s[18:19], -v[10:11]
	v_mul_f64_e32 v[10:11], s[52:53], v[27:28]
	v_mul_f64_e32 v[27:28], s[50:51], v[27:28]
	v_add_f64_e32 v[65:66], v[67:68], v[65:66]
	scratch_store_b64 off, v[10:11], off offset:328 ; 8-byte Folded Spill
	v_fma_f64 v[67:68], v[113:114], s[16:17], v[10:11]
	v_mul_f64_e32 v[10:11], s[52:53], v[25:26]
	s_delay_alu instid0(VALU_DEP_2) | instskip(SKIP_3) | instid1(VALU_DEP_2)
	v_add_f64_e32 v[21:22], v[67:68], v[21:22]
	scratch_store_b64 off, v[10:11], off offset:344 ; 8-byte Folded Spill
	v_fma_f64 v[67:68], v[121:122], s[16:17], -v[10:11]
	v_mul_f64_e32 v[10:11], s[50:51], v[14:15]
	v_add_f64_e32 v[65:66], v[67:68], v[65:66]
	scratch_store_b64 off, v[10:11], off offset:320 ; 8-byte Folded Spill
	v_fma_f64 v[67:68], v[119:120], s[12:13], v[10:11]
	v_mul_f64_e32 v[10:11], s[50:51], v[29:30]
	s_delay_alu instid0(VALU_DEP_2) | instskip(SKIP_3) | instid1(VALU_DEP_2)
	v_add_f64_e32 v[21:22], v[67:68], v[21:22]
	scratch_store_b64 off, v[10:11], off offset:360 ; 8-byte Folded Spill
	v_fma_f64 v[67:68], v[129:130], s[12:13], -v[10:11]
	v_mul_f64_e32 v[10:11], s[38:39], v[8:9]
	v_add_f64_e32 v[65:66], v[67:68], v[65:66]
	scratch_store_b64 off, v[10:11], off offset:352 ; 8-byte Folded Spill
	v_fma_f64 v[67:68], v[135:136], s[10:11], v[10:11]
	v_mul_f64_e32 v[10:11], s[38:39], v[12:13]
	v_mul_f64_e32 v[12:13], s[46:47], v[12:13]
	s_delay_alu instid0(VALU_DEP_3) | instskip(SKIP_3) | instid1(VALU_DEP_2)
	v_add_f64_e32 v[21:22], v[67:68], v[21:22]
	scratch_store_b64 off, v[10:11], off offset:392 ; 8-byte Folded Spill
	v_fma_f64 v[67:68], v[139:140], s[10:11], -v[10:11]
	v_mul_f64_e32 v[10:11], s[40:41], v[0:1]
	v_add_f64_e32 v[65:66], v[67:68], v[65:66]
	scratch_store_b64 off, v[10:11], off offset:384 ; 8-byte Folded Spill
	v_fma_f64 v[67:68], v[143:144], s[8:9], v[10:11]
	v_mul_f64_e32 v[10:11], s[40:41], v[6:7]
	s_delay_alu instid0(VALU_DEP_2) | instskip(SKIP_3) | instid1(VALU_DEP_2)
	v_add_f64_e32 v[21:22], v[67:68], v[21:22]
	scratch_store_b64 off, v[10:11], off offset:416 ; 8-byte Folded Spill
	v_fma_f64 v[67:68], v[145:146], s[8:9], -v[10:11]
	v_mul_f64_e32 v[10:11], s[34:35], v[4:5]
	v_add_f64_e32 v[65:66], v[67:68], v[65:66]
	scratch_store_b64 off, v[10:11], off offset:408 ; 8-byte Folded Spill
	v_fma_f64 v[67:68], v[147:148], s[6:7], -v[10:11]
	v_mul_f64_e32 v[10:11], s[34:35], v[2:3]
	v_mul_f64_e32 v[2:3], s[54:55], v[2:3]
	s_delay_alu instid0(VALU_DEP_3) | instskip(NEXT) | instid1(VALU_DEP_3)
	v_add_f64_e32 v[65:66], v[67:68], v[65:66]
	v_fma_f64 v[67:68], v[153:154], s[6:7], v[10:11]
	s_delay_alu instid0(VALU_DEP_1) | instskip(NEXT) | instid1(VALU_DEP_3)
	v_add_f64_e32 v[21:22], v[67:68], v[21:22]
	v_mul_f64_e32 v[67:68], v[65:66], v[239:240]
	s_delay_alu instid0(VALU_DEP_2) | instskip(NEXT) | instid1(VALU_DEP_2)
	v_mul_f64_e32 v[75:76], v[21:22], v[239:240]
	v_fma_f64 v[23:24], v[21:22], v[237:238], -v[67:68]
	v_mul_f64_e32 v[239:240], s[40:41], v[37:38]
	v_fma_f64 v[67:68], v[103:104], s[18:19], -v[235:236]
	s_delay_alu instid0(VALU_DEP_4)
	v_fma_f64 v[21:22], v[65:66], v[237:238], v[75:76]
	scratch_store_b64 off, v[10:11], off offset:448 ; 8-byte Folded Spill
	v_fma_f64 v[65:66], v[91:92], s[18:19], v[225:226]
	v_mul_f64_e32 v[237:238], s[52:53], v[31:32]
	v_fma_f64 v[75:76], v[119:120], s[26:27], v[211:212]
	v_mul_f64_e32 v[10:11], s[50:51], v[0:1]
	v_mul_f64_e32 v[31:32], s[34:35], v[31:32]
	scratch_store_b128 off, v[21:24], off offset:36 ; 16-byte Folded Spill
	v_fma_f64 v[21:22], v[89:90], s[8:9], v[239:240]
	s_delay_alu instid0(VALU_DEP_1) | instskip(NEXT) | instid1(VALU_DEP_1)
	v_add_f64_e32 v[21:22], v[19:20], v[21:22]
	v_add_f64_e32 v[21:22], v[65:66], v[21:22]
	v_fma_f64 v[65:66], v[101:102], s[8:9], -v[233:234]
	s_delay_alu instid0(VALU_DEP_1) | instskip(NEXT) | instid1(VALU_DEP_1)
	v_add_f64_e32 v[65:66], v[17:18], v[65:66]
	v_add_f64_e32 v[65:66], v[67:68], v[65:66]
	v_fma_f64 v[67:68], v[105:106], s[16:17], v[219:220]
	s_delay_alu instid0(VALU_DEP_1) | instskip(SKIP_1) | instid1(VALU_DEP_1)
	v_add_f64_e32 v[21:22], v[67:68], v[21:22]
	v_fma_f64 v[67:68], v[111:112], s[16:17], -v[237:238]
	v_add_f64_e32 v[65:66], v[67:68], v[65:66]
	v_fma_f64 v[67:68], v[113:114], s[10:11], v[253:254]
	s_delay_alu instid0(VALU_DEP_1) | instskip(SKIP_1) | instid1(VALU_DEP_2)
	v_add_f64_e32 v[21:22], v[67:68], v[21:22]
	v_fma_f64 v[67:68], v[121:122], s[10:11], -v[223:224]
	v_add_f64_e32 v[75:76], v[75:76], v[21:22]
	s_delay_alu instid0(VALU_DEP_2) | instskip(SKIP_2) | instid1(VALU_DEP_4)
	v_add_f64_e32 v[67:68], v[67:68], v[65:66]
	v_fma_f64 v[21:22], v[129:130], s[26:27], -v[221:222]
	v_mul_f64_e32 v[65:66], s[36:37], v[0:1]
	v_add_f64_e32 v[75:76], v[115:116], v[75:76]
	v_fma_f64 v[115:116], v[139:140], s[6:7], -v[249:250]
	s_delay_alu instid0(VALU_DEP_4) | instskip(NEXT) | instid1(VALU_DEP_1)
	v_add_f64_e32 v[67:68], v[21:22], v[67:68]
	v_add_f64_e32 v[67:68], v[115:116], v[67:68]
	v_fma_f64 v[115:116], v[143:144], s[24:25], v[251:252]
	s_delay_alu instid0(VALU_DEP_1) | instskip(SKIP_2) | instid1(VALU_DEP_3)
	v_add_f64_e32 v[167:168], v[115:116], v[75:76]
	v_fma_f64 v[75:76], v[145:146], s[24:25], -v[217:218]
	v_mul_f64_e32 v[115:116], s[30:31], v[4:5]
	v_add_f64_e32 v[163:164], v[163:164], v[167:168]
	s_delay_alu instid0(VALU_DEP_3) | instskip(SKIP_2) | instid1(VALU_DEP_3)
	v_add_f64_e32 v[67:68], v[75:76], v[67:68]
	v_mul_f64_e32 v[75:76], s[36:37], v[6:7]
	v_mul_f64_e32 v[6:7], s[28:29], v[6:7]
	v_add_f64_e32 v[169:170], v[169:170], v[67:68]
	v_mul_f64_e32 v[67:68], s[42:43], v[8:9]
	s_delay_alu instid0(VALU_DEP_2) | instskip(SKIP_1) | instid1(VALU_DEP_2)
	v_mul_f64_e32 v[167:168], v[169:170], v[51:52]
	v_mul_f64_e32 v[51:52], v[163:164], v[51:52]
	v_fma_f64 v[23:24], v[163:164], v[53:54], -v[167:168]
	s_delay_alu instid0(VALU_DEP_2)
	v_fma_f64 v[21:22], v[169:170], v[53:54], v[51:52]
	v_fma_f64 v[51:52], v[89:90], s[16:17], v[141:142]
	;; [unrolled: 1-line block ×3, first 2 shown]
	v_fma_f64 v[167:168], v[103:104], s[6:7], -v[171:172]
	v_mul_f64_e32 v[169:170], s[38:39], v[0:1]
	v_mul_f64_e32 v[53:54], s[58:59], v[25:26]
	v_mul_f64_e32 v[25:26], s[50:51], v[25:26]
	v_mul_f64_e32 v[0:1], s[28:29], v[0:1]
	scratch_store_b128 off, v[21:24], off offset:52 ; 16-byte Folded Spill
	v_add_f64_e32 v[51:52], v[19:20], v[51:52]
	s_delay_alu instid0(VALU_DEP_1) | instskip(SKIP_1) | instid1(VALU_DEP_1)
	v_add_f64_e32 v[51:52], v[163:164], v[51:52]
	v_fma_f64 v[163:164], v[101:102], s[16:17], -v[173:174]
	v_add_f64_e32 v[163:164], v[17:18], v[163:164]
	s_delay_alu instid0(VALU_DEP_1) | instskip(SKIP_1) | instid1(VALU_DEP_1)
	v_add_f64_e32 v[163:164], v[167:168], v[163:164]
	v_fma_f64 v[167:168], v[105:106], s[12:13], v[127:128]
	v_add_f64_e32 v[51:52], v[167:168], v[51:52]
	v_fma_f64 v[167:168], v[111:112], s[12:13], -v[149:150]
	s_delay_alu instid0(VALU_DEP_1) | instskip(SKIP_1) | instid1(VALU_DEP_1)
	v_add_f64_e32 v[163:164], v[167:168], v[163:164]
	v_fma_f64 v[167:168], v[113:114], s[26:27], v[123:124]
	v_add_f64_e32 v[51:52], v[167:168], v[51:52]
	v_fma_f64 v[167:168], v[121:122], s[26:27], -v[133:134]
	;; [unrolled: 5-line block ×5, first 2 shown]
	s_delay_alu instid0(VALU_DEP_1) | instskip(SKIP_1) | instid1(VALU_DEP_1)
	v_add_f64_e32 v[163:164], v[167:168], v[163:164]
	v_fma_f64 v[167:168], v[147:148], s[24:25], -v[115:116]
	v_add_f64_e32 v[163:164], v[167:168], v[163:164]
	v_fma_f64 v[167:168], v[153:154], s[24:25], v[109:110]
	s_delay_alu instid0(VALU_DEP_1) | instskip(NEXT) | instid1(VALU_DEP_3)
	v_add_f64_e32 v[51:52], v[167:168], v[51:52]
	v_mul_f64_e32 v[167:168], v[163:164], v[159:160]
	s_delay_alu instid0(VALU_DEP_2) | instskip(NEXT) | instid1(VALU_DEP_2)
	v_mul_f64_e32 v[159:160], v[51:52], v[159:160]
	v_fma_f64 v[23:24], v[51:52], v[157:158], -v[167:168]
	v_fma_f64 v[167:168], v[103:104], s[16:17], -v[95:96]
	v_mul_f64_e32 v[51:52], s[38:39], v[29:30]
	v_mul_f64_e32 v[29:30], s[30:31], v[29:30]
	v_fma_f64 v[21:22], v[163:164], v[157:158], v[159:160]
	v_fma_f64 v[157:158], v[89:90], s[24:25], v[87:88]
	v_mul_f64_e32 v[163:164], s[52:53], v[165:166]
	scratch_store_b128 off, v[21:24], off offset:68 ; 16-byte Folded Spill
	v_add_f64_e32 v[157:158], v[19:20], v[157:158]
	v_fma_f64 v[159:160], v[91:92], s[16:17], v[163:164]
	s_delay_alu instid0(VALU_DEP_1) | instskip(SKIP_1) | instid1(VALU_DEP_1)
	v_add_f64_e32 v[157:158], v[159:160], v[157:158]
	v_fma_f64 v[159:160], v[101:102], s[24:25], -v[97:98]
	v_add_f64_e32 v[159:160], v[17:18], v[159:160]
	s_delay_alu instid0(VALU_DEP_1) | instskip(SKIP_1) | instid1(VALU_DEP_1)
	v_add_f64_e32 v[159:160], v[167:168], v[159:160]
	v_fma_f64 v[167:168], v[105:106], s[10:11], v[81:82]
	v_add_f64_e32 v[157:158], v[167:168], v[157:158]
	v_fma_f64 v[167:168], v[111:112], s[10:11], -v[93:94]
	s_delay_alu instid0(VALU_DEP_1) | instskip(SKIP_1) | instid1(VALU_DEP_1)
	v_add_f64_e32 v[159:160], v[167:168], v[159:160]
	v_fma_f64 v[167:168], v[113:114], s[6:7], v[77:78]
	v_add_f64_e32 v[157:158], v[167:168], v[157:158]
	v_fma_f64 v[167:168], v[121:122], s[6:7], -v[85:86]
	;; [unrolled: 5-line block ×5, first 2 shown]
	s_delay_alu instid0(VALU_DEP_1) | instskip(SKIP_2) | instid1(VALU_DEP_2)
	v_add_f64_e32 v[159:160], v[167:168], v[159:160]
	v_mul_f64_e32 v[167:168], s[46:47], v[4:5]
	v_mul_f64_e32 v[4:5], s[54:55], v[4:5]
	v_fma_f64 v[205:206], v[147:148], s[26:27], -v[167:168]
	s_delay_alu instid0(VALU_DEP_1) | instskip(SKIP_1) | instid1(VALU_DEP_1)
	v_add_f64_e32 v[205:206], v[205:206], v[159:160]
	v_fma_f64 v[159:160], v[153:154], s[26:27], v[73:74]
	v_add_f64_e32 v[157:158], v[159:160], v[157:158]
	s_delay_alu instid0(VALU_DEP_3) | instskip(NEXT) | instid1(VALU_DEP_2)
	v_mul_f64_e32 v[159:160], v[205:206], v[63:64]
	v_mul_f64_e32 v[63:64], v[157:158], v[63:64]
	s_delay_alu instid0(VALU_DEP_2) | instskip(SKIP_1) | instid1(VALU_DEP_3)
	v_fma_f64 v[23:24], v[157:158], v[69:70], -v[159:160]
	v_fma_f64 v[159:160], v[103:104], s[26:27], -v[57:58]
	v_fma_f64 v[21:22], v[205:206], v[69:70], v[63:64]
	v_mul_f64_e32 v[63:64], s[34:35], v[37:38]
	v_mul_f64_e32 v[205:206], s[46:47], v[165:166]
	;; [unrolled: 1-line block ×3, first 2 shown]
	scratch_store_b128 off, v[21:24], off offset:84 ; 16-byte Folded Spill
	v_fma_f64 v[69:70], v[89:90], s[6:7], v[63:64]
	v_fma_f64 v[157:158], v[91:92], s[26:27], v[205:206]
	v_mul_f64_e32 v[23:24], s[38:39], v[14:15]
	v_mul_f64_e32 v[21:22], s[36:37], v[8:9]
	;; [unrolled: 1-line block ×4, first 2 shown]
	v_add_f64_e32 v[69:70], v[19:20], v[69:70]
	s_delay_alu instid0(VALU_DEP_1) | instskip(SKIP_1) | instid1(VALU_DEP_1)
	v_add_f64_e32 v[69:70], v[157:158], v[69:70]
	v_fma_f64 v[157:158], v[101:102], s[6:7], -v[61:62]
	v_add_f64_e32 v[157:158], v[17:18], v[157:158]
	s_delay_alu instid0(VALU_DEP_1) | instskip(SKIP_1) | instid1(VALU_DEP_1)
	v_add_f64_e32 v[157:158], v[159:160], v[157:158]
	v_fma_f64 v[159:160], v[105:106], s[8:9], v[49:50]
	v_add_f64_e32 v[69:70], v[159:160], v[69:70]
	v_fma_f64 v[159:160], v[111:112], s[8:9], -v[55:56]
	s_delay_alu instid0(VALU_DEP_1) | instskip(SKIP_1) | instid1(VALU_DEP_1)
	v_add_f64_e32 v[157:158], v[159:160], v[157:158]
	v_fma_f64 v[159:160], v[113:114], s[24:25], v[45:46]
	v_add_f64_e32 v[69:70], v[159:160], v[69:70]
	v_fma_f64 v[159:160], v[121:122], s[24:25], -v[53:54]
	;; [unrolled: 5-line block ×5, first 2 shown]
	s_delay_alu instid0(VALU_DEP_1) | instskip(SKIP_1) | instid1(VALU_DEP_1)
	v_add_f64_e32 v[157:158], v[159:160], v[157:158]
	v_fma_f64 v[159:160], v[147:148], s[16:17], -v[41:42]
	v_add_f64_e32 v[157:158], v[159:160], v[157:158]
	v_fma_f64 v[159:160], v[153:154], s[16:17], v[39:40]
	s_delay_alu instid0(VALU_DEP_1) | instskip(NEXT) | instid1(VALU_DEP_3)
	v_add_f64_e32 v[69:70], v[159:160], v[69:70]
	v_mul_f64_e32 v[159:160], v[157:158], v[151:152]
	s_delay_alu instid0(VALU_DEP_2) | instskip(NEXT) | instid1(VALU_DEP_2)
	v_mul_f64_e32 v[151:152], v[69:70], v[151:152]
	v_fma_f64 v[159:160], v[69:70], v[155:156], -v[159:160]
	v_mul_f64_e32 v[69:70], s[48:49], v[165:166]
	s_delay_alu instid0(VALU_DEP_3) | instskip(SKIP_1) | instid1(VALU_DEP_3)
	v_fma_f64 v[157:158], v[157:158], v[155:156], v[151:152]
	v_fma_f64 v[151:152], v[89:90], s[18:19], v[37:38]
	;; [unrolled: 1-line block ×3, first 2 shown]
	v_fma_f64 v[37:38], v[89:90], s[18:19], -v[37:38]
	v_fma_f64 v[69:70], v[91:92], s[10:11], -v[69:70]
	s_delay_alu instid0(VALU_DEP_4) | instskip(NEXT) | instid1(VALU_DEP_3)
	v_add_f64_e32 v[151:152], v[19:20], v[151:152]
	v_add_f64_e32 v[37:38], v[19:20], v[37:38]
	s_delay_alu instid0(VALU_DEP_2) | instskip(SKIP_2) | instid1(VALU_DEP_4)
	v_add_f64_e32 v[151:152], v[155:156], v[151:152]
	v_mul_f64_e32 v[155:156], s[48:49], v[33:34]
	v_fma_f64 v[33:34], v[101:102], s[18:19], -v[59:60]
	v_add_f64_e32 v[37:38], v[69:70], v[37:38]
	s_delay_alu instid0(VALU_DEP_3) | instskip(NEXT) | instid1(VALU_DEP_3)
	v_fma_f64 v[165:166], v[103:104], s[10:11], -v[155:156]
	v_add_f64_e32 v[33:34], v[17:18], v[33:34]
	s_delay_alu instid0(VALU_DEP_1) | instskip(SKIP_1) | instid1(VALU_DEP_1)
	v_add_f64_e32 v[33:34], v[165:166], v[33:34]
	v_mul_f64_e32 v[165:166], s[34:35], v[35:36]
	v_fma_f64 v[35:36], v[105:106], s[6:7], v[165:166]
	v_fma_f64 v[69:70], v[105:106], s[6:7], -v[165:166]
	s_delay_alu instid0(VALU_DEP_2) | instskip(SKIP_1) | instid1(VALU_DEP_3)
	v_add_f64_e32 v[35:36], v[35:36], v[151:152]
	v_fma_f64 v[151:152], v[111:112], s[6:7], -v[31:32]
	v_add_f64_e32 v[37:38], v[69:70], v[37:38]
	s_delay_alu instid0(VALU_DEP_2) | instskip(SKIP_2) | instid1(VALU_DEP_2)
	v_add_f64_e32 v[33:34], v[151:152], v[33:34]
	v_fma_f64 v[151:152], v[113:114], s[12:13], v[27:28]
	v_fma_f64 v[27:28], v[113:114], s[12:13], -v[27:28]
	v_add_f64_e32 v[35:36], v[151:152], v[35:36]
	v_fma_f64 v[151:152], v[121:122], s[12:13], -v[25:26]
	s_delay_alu instid0(VALU_DEP_3) | instskip(NEXT) | instid1(VALU_DEP_2)
	v_add_f64_e32 v[27:28], v[27:28], v[37:38]
	v_add_f64_e32 v[33:34], v[151:152], v[33:34]
	v_fma_f64 v[151:152], v[119:120], s[24:25], v[14:15]
	v_fma_f64 v[14:15], v[119:120], s[24:25], -v[14:15]
	s_delay_alu instid0(VALU_DEP_2) | instskip(SKIP_1) | instid1(VALU_DEP_3)
	v_add_f64_e32 v[35:36], v[151:152], v[35:36]
	v_fma_f64 v[151:152], v[135:136], s[26:27], v[8:9]
	v_add_f64_e32 v[14:15], v[14:15], v[27:28]
	v_fma_f64 v[8:9], v[135:136], s[26:27], -v[8:9]
	s_delay_alu instid0(VALU_DEP_3) | instskip(SKIP_1) | instid1(VALU_DEP_3)
	v_add_f64_e32 v[35:36], v[151:152], v[35:36]
	v_fma_f64 v[151:152], v[143:144], s[16:17], v[0:1]
	v_add_f64_e32 v[8:9], v[8:9], v[14:15]
	v_fma_f64 v[0:1], v[143:144], s[16:17], -v[0:1]
	v_fma_f64 v[14:15], v[103:104], s[10:11], v[155:156]
	s_delay_alu instid0(VALU_DEP_4) | instskip(SKIP_1) | instid1(VALU_DEP_4)
	v_add_f64_e32 v[35:36], v[151:152], v[35:36]
	v_fma_f64 v[151:152], v[129:130], s[24:25], -v[29:30]
	v_add_f64_e32 v[0:1], v[0:1], v[8:9]
	v_fma_f64 v[8:9], v[101:102], s[18:19], v[59:60]
	s_delay_alu instid0(VALU_DEP_3) | instskip(SKIP_1) | instid1(VALU_DEP_3)
	v_add_f64_e32 v[33:34], v[151:152], v[33:34]
	v_fma_f64 v[151:152], v[139:140], s[26:27], -v[12:13]
	v_add_f64_e32 v[8:9], v[17:18], v[8:9]
	v_fma_f64 v[12:13], v[139:140], s[26:27], v[12:13]
	s_delay_alu instid0(VALU_DEP_3) | instskip(NEXT) | instid1(VALU_DEP_3)
	v_add_f64_e32 v[33:34], v[151:152], v[33:34]
	v_add_f64_e32 v[8:9], v[14:15], v[8:9]
	v_fma_f64 v[14:15], v[111:112], s[6:7], v[31:32]
	v_fma_f64 v[151:152], v[145:146], s[16:17], -v[6:7]
	v_fma_f64 v[6:7], v[145:146], s[16:17], v[6:7]
	s_delay_alu instid0(VALU_DEP_3) | instskip(SKIP_1) | instid1(VALU_DEP_4)
	v_add_f64_e32 v[8:9], v[14:15], v[8:9]
	v_fma_f64 v[14:15], v[121:122], s[12:13], v[25:26]
	v_add_f64_e32 v[33:34], v[151:152], v[33:34]
	v_fma_f64 v[151:152], v[147:148], s[8:9], -v[4:5]
	v_fma_f64 v[4:5], v[147:148], s[8:9], v[4:5]
	s_delay_alu instid0(VALU_DEP_4) | instskip(SKIP_1) | instid1(VALU_DEP_4)
	v_add_f64_e32 v[8:9], v[14:15], v[8:9]
	v_fma_f64 v[14:15], v[129:130], s[24:25], v[29:30]
	v_add_f64_e32 v[33:34], v[151:152], v[33:34]
	v_fma_f64 v[151:152], v[153:154], s[8:9], v[2:3]
	v_fma_f64 v[2:3], v[153:154], s[8:9], -v[2:3]
	s_delay_alu instid0(VALU_DEP_4) | instskip(NEXT) | instid1(VALU_DEP_3)
	v_add_f64_e32 v[8:9], v[14:15], v[8:9]
	v_add_f64_e32 v[35:36], v[151:152], v[35:36]
	s_delay_alu instid0(VALU_DEP_3) | instskip(SKIP_1) | instid1(VALU_DEP_4)
	v_add_f64_e32 v[0:1], v[2:3], v[0:1]
	v_mul_f64_e32 v[151:152], v[33:34], v[241:242]
	v_add_f64_e32 v[8:9], v[12:13], v[8:9]
	s_delay_alu instid0(VALU_DEP_4) | instskip(NEXT) | instid1(VALU_DEP_3)
	v_mul_f64_e32 v[241:242], v[35:36], v[241:242]
	v_fma_f64 v[35:36], v[35:36], v[243:244], -v[151:152]
	s_delay_alu instid0(VALU_DEP_3) | instskip(SKIP_4) | instid1(VALU_DEP_2)
	v_add_f64_e32 v[6:7], v[6:7], v[8:9]
	scratch_load_b64 v[8:9], off, off offset:696 th:TH_LOAD_LU ; 8-byte Folded Reload
	v_fma_f64 v[33:34], v[33:34], v[243:244], v[241:242]
	v_add_f64_e32 v[4:5], v[4:5], v[6:7]
	v_mul_f64_e32 v[6:7], v[0:1], v[245:246]
	v_mul_f64_e32 v[2:3], v[4:5], v[245:246]
	s_delay_alu instid0(VALU_DEP_2)
	v_fma_f64 v[12:13], v[4:5], v[207:208], v[6:7]
	scratch_load_b64 v[6:7], off, off offset:704 th:TH_LOAD_LU ; 8-byte Folded Reload
	v_fma_f64 v[4:5], v[103:104], s[26:27], v[57:58]
	v_fma_f64 v[14:15], v[0:1], v[207:208], -v[2:3]
	v_fma_f64 v[0:1], v[89:90], s[6:7], -v[63:64]
	v_fma_f64 v[2:3], v[91:92], s[26:27], -v[205:206]
	s_delay_alu instid0(VALU_DEP_2) | instskip(NEXT) | instid1(VALU_DEP_1)
	v_add_f64_e32 v[0:1], v[19:20], v[0:1]
	v_add_f64_e32 v[0:1], v[2:3], v[0:1]
	v_fma_f64 v[2:3], v[105:106], s[8:9], -v[49:50]
	s_delay_alu instid0(VALU_DEP_1) | instskip(SKIP_1) | instid1(VALU_DEP_1)
	v_add_f64_e32 v[0:1], v[2:3], v[0:1]
	v_fma_f64 v[2:3], v[113:114], s[24:25], -v[45:46]
	v_add_f64_e32 v[0:1], v[2:3], v[0:1]
	v_fma_f64 v[2:3], v[119:120], s[10:11], -v[23:24]
	s_delay_alu instid0(VALU_DEP_1) | instskip(SKIP_1) | instid1(VALU_DEP_1)
	v_add_f64_e32 v[0:1], v[2:3], v[0:1]
	v_fma_f64 v[2:3], v[135:136], s[18:19], -v[21:22]
	v_add_f64_e32 v[0:1], v[2:3], v[0:1]
	v_fma_f64 v[2:3], v[143:144], s[12:13], -v[10:11]
	scratch_load_b64 v[10:11], off, off offset:288 th:TH_LOAD_LU ; 8-byte Folded Reload
	v_add_f64_e32 v[0:1], v[2:3], v[0:1]
	v_fma_f64 v[2:3], v[101:102], s[6:7], v[61:62]
	s_delay_alu instid0(VALU_DEP_1) | instskip(NEXT) | instid1(VALU_DEP_1)
	v_add_f64_e32 v[2:3], v[17:18], v[2:3]
	v_add_f64_e32 v[2:3], v[4:5], v[2:3]
	v_fma_f64 v[4:5], v[111:112], s[8:9], v[55:56]
	s_delay_alu instid0(VALU_DEP_1) | instskip(SKIP_1) | instid1(VALU_DEP_1)
	v_add_f64_e32 v[2:3], v[4:5], v[2:3]
	v_fma_f64 v[4:5], v[121:122], s[24:25], v[53:54]
	v_add_f64_e32 v[2:3], v[4:5], v[2:3]
	v_fma_f64 v[4:5], v[129:130], s[10:11], v[51:52]
	s_delay_alu instid0(VALU_DEP_1) | instskip(SKIP_1) | instid1(VALU_DEP_1)
	v_add_f64_e32 v[2:3], v[4:5], v[2:3]
	v_fma_f64 v[4:5], v[139:140], s[18:19], v[47:48]
	v_add_f64_e32 v[2:3], v[4:5], v[2:3]
	v_fma_f64 v[4:5], v[145:146], s[12:13], v[43:44]
	s_delay_alu instid0(VALU_DEP_1) | instskip(SKIP_3) | instid1(VALU_DEP_2)
	v_add_f64_e32 v[2:3], v[4:5], v[2:3]
	v_fma_f64 v[4:5], v[147:148], s[16:17], v[41:42]
	s_wait_loadcnt 0x0
	v_fma_f64 v[10:11], v[103:104], s[24:25], v[10:11]
	v_add_f64_e32 v[2:3], v[4:5], v[2:3]
	v_fma_f64 v[4:5], v[153:154], s[16:17], -v[39:40]
	s_delay_alu instid0(VALU_DEP_1) | instskip(NEXT) | instid1(VALU_DEP_3)
	v_add_f64_e32 v[0:1], v[4:5], v[0:1]
	v_mul_f64_e32 v[4:5], v[2:3], v[6:7]
	s_delay_alu instid0(VALU_DEP_2) | instskip(NEXT) | instid1(VALU_DEP_2)
	v_mul_f64_e32 v[6:7], v[0:1], v[6:7]
	v_fma_f64 v[27:28], v[0:1], v[8:9], -v[4:5]
	v_fma_f64 v[0:1], v[89:90], s[24:25], -v[87:88]
	v_fma_f64 v[4:5], v[103:104], s[16:17], v[95:96]
	s_delay_alu instid0(VALU_DEP_4) | instskip(SKIP_1) | instid1(VALU_DEP_4)
	v_fma_f64 v[25:26], v[2:3], v[8:9], v[6:7]
	v_fma_f64 v[2:3], v[91:92], s[16:17], -v[163:164]
	v_add_f64_e32 v[0:1], v[19:20], v[0:1]
	s_clause 0x1
	scratch_load_b64 v[6:7], off, off offset:600 th:TH_LOAD_LU
	scratch_load_b64 v[8:9], off, off offset:592 th:TH_LOAD_LU
	v_add_f64_e32 v[0:1], v[2:3], v[0:1]
	v_fma_f64 v[2:3], v[105:106], s[10:11], -v[81:82]
	s_delay_alu instid0(VALU_DEP_1) | instskip(SKIP_1) | instid1(VALU_DEP_1)
	v_add_f64_e32 v[0:1], v[2:3], v[0:1]
	v_fma_f64 v[2:3], v[113:114], s[6:7], -v[77:78]
	v_add_f64_e32 v[0:1], v[2:3], v[0:1]
	v_fma_f64 v[2:3], v[119:120], s[8:9], -v[71:72]
	s_delay_alu instid0(VALU_DEP_1) | instskip(SKIP_1) | instid1(VALU_DEP_1)
	v_add_f64_e32 v[0:1], v[2:3], v[0:1]
	v_fma_f64 v[2:3], v[135:136], s[12:13], -v[67:68]
	v_add_f64_e32 v[0:1], v[2:3], v[0:1]
	v_fma_f64 v[2:3], v[143:144], s[18:19], -v[65:66]
	s_delay_alu instid0(VALU_DEP_1) | instskip(SKIP_1) | instid1(VALU_DEP_1)
	v_add_f64_e32 v[0:1], v[2:3], v[0:1]
	v_fma_f64 v[2:3], v[101:102], s[24:25], v[97:98]
	v_add_f64_e32 v[2:3], v[17:18], v[2:3]
	s_delay_alu instid0(VALU_DEP_1) | instskip(SKIP_1) | instid1(VALU_DEP_1)
	v_add_f64_e32 v[2:3], v[4:5], v[2:3]
	v_fma_f64 v[4:5], v[111:112], s[10:11], v[93:94]
	v_add_f64_e32 v[2:3], v[4:5], v[2:3]
	v_fma_f64 v[4:5], v[121:122], s[6:7], v[85:86]
	s_delay_alu instid0(VALU_DEP_1) | instskip(SKIP_1) | instid1(VALU_DEP_1)
	v_add_f64_e32 v[2:3], v[4:5], v[2:3]
	v_fma_f64 v[4:5], v[129:130], s[8:9], v[83:84]
	v_add_f64_e32 v[2:3], v[4:5], v[2:3]
	v_fma_f64 v[4:5], v[139:140], s[12:13], v[79:80]
	;; [unrolled: 5-line block ×3, first 2 shown]
	s_delay_alu instid0(VALU_DEP_1) | instskip(SKIP_1) | instid1(VALU_DEP_1)
	v_add_f64_e32 v[2:3], v[4:5], v[2:3]
	v_fma_f64 v[4:5], v[153:154], s[26:27], -v[73:74]
	v_add_f64_e32 v[0:1], v[4:5], v[0:1]
	s_wait_loadcnt 0x1
	s_delay_alu instid0(VALU_DEP_3) | instskip(NEXT) | instid1(VALU_DEP_2)
	v_mul_f64_e32 v[4:5], v[2:3], v[6:7]
	v_mul_f64_e32 v[6:7], v[0:1], v[6:7]
	s_wait_loadcnt 0x0
	s_delay_alu instid0(VALU_DEP_2) | instskip(SKIP_2) | instid1(VALU_DEP_4)
	v_fma_f64 v[31:32], v[0:1], v[8:9], -v[4:5]
	v_fma_f64 v[0:1], v[89:90], s[12:13], -v[203:204]
	v_fma_f64 v[4:5], v[103:104], s[8:9], v[197:198]
	v_fma_f64 v[29:30], v[2:3], v[8:9], v[6:7]
	v_fma_f64 v[2:3], v[91:92], s[8:9], -v[201:202]
	s_delay_alu instid0(VALU_DEP_4)
	v_add_f64_e32 v[0:1], v[19:20], v[0:1]
	s_clause 0x1
	scratch_load_b64 v[6:7], off, off offset:432 th:TH_LOAD_LU
	scratch_load_b64 v[8:9], off, off offset:424 th:TH_LOAD_LU
	v_add_f64_e32 v[0:1], v[2:3], v[0:1]
	v_fma_f64 v[2:3], v[101:102], s[12:13], v[199:200]
	s_delay_alu instid0(VALU_DEP_1) | instskip(NEXT) | instid1(VALU_DEP_1)
	v_add_f64_e32 v[2:3], v[17:18], v[2:3]
	v_add_f64_e32 v[2:3], v[4:5], v[2:3]
	v_fma_f64 v[4:5], v[105:106], s[24:25], -v[195:196]
	s_delay_alu instid0(VALU_DEP_1) | instskip(SKIP_1) | instid1(VALU_DEP_1)
	v_add_f64_e32 v[0:1], v[4:5], v[0:1]
	v_fma_f64 v[4:5], v[111:112], s[24:25], v[193:194]
	v_add_f64_e32 v[2:3], v[4:5], v[2:3]
	v_fma_f64 v[4:5], v[113:114], s[18:19], -v[191:192]
	s_delay_alu instid0(VALU_DEP_1) | instskip(SKIP_1) | instid1(VALU_DEP_1)
	v_add_f64_e32 v[0:1], v[4:5], v[0:1]
	v_fma_f64 v[4:5], v[121:122], s[18:19], v[189:190]
	;; [unrolled: 5-line block ×5, first 2 shown]
	v_add_f64_e32 v[2:3], v[4:5], v[2:3]
	v_fma_f64 v[4:5], v[147:148], s[10:11], v[175:176]
	s_delay_alu instid0(VALU_DEP_1) | instskip(SKIP_1) | instid1(VALU_DEP_1)
	v_add_f64_e32 v[2:3], v[4:5], v[2:3]
	v_fma_f64 v[4:5], v[153:154], s[10:11], -v[161:162]
	v_add_f64_e32 v[0:1], v[4:5], v[0:1]
	s_wait_loadcnt 0x1
	s_delay_alu instid0(VALU_DEP_3) | instskip(NEXT) | instid1(VALU_DEP_2)
	v_mul_f64_e32 v[4:5], v[2:3], v[6:7]
	v_mul_f64_e32 v[6:7], v[0:1], v[6:7]
	s_wait_loadcnt 0x0
	s_delay_alu instid0(VALU_DEP_2)
	v_fma_f64 v[197:198], v[0:1], v[8:9], -v[4:5]
	s_clause 0x1
	scratch_load_b64 v[0:1], off, off offset:528 th:TH_LOAD_LU
	scratch_load_b64 v[4:5], off, off offset:568 th:TH_LOAD_LU
	v_fma_f64 v[195:196], v[2:3], v[8:9], v[6:7]
	s_clause 0x2
	scratch_load_b64 v[2:3], off, off offset:536 th:TH_LOAD_LU
	scratch_load_b64 v[6:7], off, off offset:204 th:TH_LOAD_LU
	scratch_load_b64 v[8:9], off, off offset:196 th:TH_LOAD_LU
	s_wait_loadcnt 0x4
	v_fma_f64 v[0:1], v[89:90], s[10:11], -v[0:1]
	s_wait_loadcnt 0x3
	v_fma_f64 v[4:5], v[103:104], s[12:13], v[4:5]
	s_wait_loadcnt 0x2
	v_fma_f64 v[2:3], v[91:92], s[12:13], -v[2:3]
	s_delay_alu instid0(VALU_DEP_3) | instskip(NEXT) | instid1(VALU_DEP_1)
	v_add_f64_e32 v[0:1], v[19:20], v[0:1]
	v_add_f64_e32 v[0:1], v[2:3], v[0:1]
	scratch_load_b64 v[2:3], off, off offset:560 th:TH_LOAD_LU ; 8-byte Folded Reload
	s_wait_loadcnt 0x0
	v_fma_f64 v[2:3], v[101:102], s[10:11], v[2:3]
	s_delay_alu instid0(VALU_DEP_1) | instskip(NEXT) | instid1(VALU_DEP_1)
	v_add_f64_e32 v[2:3], v[17:18], v[2:3]
	v_add_f64_e32 v[2:3], v[4:5], v[2:3]
	scratch_load_b64 v[4:5], off, off offset:608 th:TH_LOAD_LU ; 8-byte Folded Reload
	s_wait_loadcnt 0x0
	v_fma_f64 v[4:5], v[105:106], s[26:27], -v[4:5]
	s_delay_alu instid0(VALU_DEP_1) | instskip(SKIP_3) | instid1(VALU_DEP_1)
	v_add_f64_e32 v[0:1], v[4:5], v[0:1]
	scratch_load_b64 v[4:5], off, off offset:632 th:TH_LOAD_LU ; 8-byte Folded Reload
	s_wait_loadcnt 0x0
	v_fma_f64 v[4:5], v[111:112], s[26:27], v[4:5]
	v_add_f64_e32 v[2:3], v[4:5], v[2:3]
	scratch_load_b64 v[4:5], off, off offset:640 th:TH_LOAD_LU ; 8-byte Folded Reload
	s_wait_loadcnt 0x0
	v_fma_f64 v[4:5], v[113:114], s[8:9], -v[4:5]
	s_delay_alu instid0(VALU_DEP_1) | instskip(SKIP_3) | instid1(VALU_DEP_1)
	v_add_f64_e32 v[0:1], v[4:5], v[0:1]
	scratch_load_b64 v[4:5], off, off offset:648 th:TH_LOAD_LU ; 8-byte Folded Reload
	s_wait_loadcnt 0x0
	v_fma_f64 v[4:5], v[121:122], s[8:9], v[4:5]
	;; [unrolled: 9-line block ×4, first 2 shown]
	v_add_f64_e32 v[2:3], v[4:5], v[2:3]
	scratch_load_b64 v[4:5], off, off offset:688 th:TH_LOAD_LU ; 8-byte Folded Reload
	s_wait_loadcnt 0x0
	v_fma_f64 v[4:5], v[143:144], s[6:7], -v[4:5]
	s_delay_alu instid0(VALU_DEP_1) | instskip(SKIP_1) | instid1(VALU_DEP_1)
	v_add_f64_e32 v[0:1], v[4:5], v[0:1]
	v_fma_f64 v[4:5], v[145:146], s[6:7], v[227:228]
	v_add_f64_e32 v[2:3], v[4:5], v[2:3]
	v_fma_f64 v[4:5], v[147:148], s[18:19], v[229:230]
	s_delay_alu instid0(VALU_DEP_1) | instskip(SKIP_1) | instid1(VALU_DEP_1)
	v_add_f64_e32 v[2:3], v[4:5], v[2:3]
	v_fma_f64 v[4:5], v[153:154], s[18:19], -v[231:232]
	v_add_f64_e32 v[0:1], v[4:5], v[0:1]
	s_delay_alu instid0(VALU_DEP_3) | instskip(NEXT) | instid1(VALU_DEP_2)
	v_mul_f64_e32 v[4:5], v[6:7], v[2:3]
	v_mul_f64_e32 v[6:7], v[6:7], v[0:1]
	s_delay_alu instid0(VALU_DEP_2)
	v_fma_f64 v[163:164], v[8:9], v[0:1], -v[4:5]
	s_clause 0x1
	scratch_load_b64 v[0:1], off, off offset:264 th:TH_LOAD_LU
	scratch_load_b64 v[4:5], off, off offset:272 th:TH_LOAD_LU
	v_fma_f64 v[161:162], v[8:9], v[2:3], v[6:7]
	s_clause 0x2
	scratch_load_b64 v[2:3], off, off offset:312 th:TH_LOAD_LU
	scratch_load_b64 v[6:7], off, off offset:156 th:TH_LOAD_LU
	;; [unrolled: 1-line block ×3, first 2 shown]
	s_wait_loadcnt 0x4
	v_add_f64_e32 v[0:1], v[17:18], v[0:1]
	s_wait_loadcnt 0x2
	s_delay_alu instid0(VALU_DEP_1) | instskip(SKIP_3) | instid1(VALU_DEP_1)
	v_add_f64_e32 v[0:1], v[0:1], v[2:3]
	scratch_load_b64 v[2:3], off, off offset:232 th:TH_LOAD_LU ; 8-byte Folded Reload
	s_wait_loadcnt 0x0
	v_add_f64_e32 v[2:3], v[19:20], v[2:3]
	v_add_f64_e32 v[2:3], v[2:3], v[4:5]
	scratch_load_b64 v[4:5], off, off offset:368 th:TH_LOAD_LU ; 8-byte Folded Reload
	v_add_f64_e32 v[2:3], v[2:3], v[247:248]
	s_wait_loadcnt 0x0
	v_add_f64_e32 v[0:1], v[0:1], v[4:5]
	scratch_load_b64 v[4:5], off, off offset:456 th:TH_LOAD_LU ; 8-byte Folded Reload
	s_wait_loadcnt 0x0
	v_add_f64_e32 v[0:1], v[0:1], v[4:5]
	scratch_load_b64 v[4:5], off, off offset:440 th:TH_LOAD_LU ; 8-byte Folded Reload
	;; [unrolled: 3-line block ×26, first 2 shown]
	s_wait_loadcnt 0x0
	v_add_f64_e32 v[2:3], v[2:3], v[4:5]
	v_mul_f64_e32 v[4:5], v[0:1], v[6:7]
	s_delay_alu instid0(VALU_DEP_2) | instskip(NEXT) | instid1(VALU_DEP_2)
	v_mul_f64_e32 v[6:7], v[2:3], v[6:7]
	v_fma_f64 v[51:52], v[2:3], v[8:9], -v[4:5]
	v_fma_f64 v[2:3], v[91:92], s[6:7], -v[137:138]
	v_fma_f64 v[4:5], v[103:104], s[6:7], v[171:172]
	s_delay_alu instid0(VALU_DEP_4)
	v_fma_f64 v[49:50], v[0:1], v[8:9], v[6:7]
	v_fma_f64 v[0:1], v[89:90], s[16:17], -v[141:142]
	s_clause 0x1
	scratch_load_b64 v[6:7], off, off offset:140 th:TH_LOAD_LU
	scratch_load_b64 v[8:9], off, off offset:132 th:TH_LOAD_LU
	v_add_f64_e32 v[0:1], v[19:20], v[0:1]
	s_delay_alu instid0(VALU_DEP_1) | instskip(SKIP_1) | instid1(VALU_DEP_1)
	v_add_f64_e32 v[0:1], v[2:3], v[0:1]
	v_fma_f64 v[2:3], v[105:106], s[12:13], -v[127:128]
	v_add_f64_e32 v[0:1], v[2:3], v[0:1]
	v_fma_f64 v[2:3], v[113:114], s[26:27], -v[123:124]
	s_delay_alu instid0(VALU_DEP_1) | instskip(SKIP_1) | instid1(VALU_DEP_1)
	v_add_f64_e32 v[0:1], v[2:3], v[0:1]
	v_fma_f64 v[2:3], v[119:120], s[18:19], -v[107:108]
	v_add_f64_e32 v[0:1], v[2:3], v[0:1]
	v_fma_f64 v[2:3], v[135:136], s[8:9], -v[99:100]
	s_delay_alu instid0(VALU_DEP_1) | instskip(SKIP_1) | instid1(VALU_DEP_1)
	v_add_f64_e32 v[0:1], v[2:3], v[0:1]
	v_fma_f64 v[2:3], v[143:144], s[10:11], -v[169:170]
	v_add_f64_e32 v[0:1], v[2:3], v[0:1]
	v_fma_f64 v[2:3], v[101:102], s[16:17], v[173:174]
	s_delay_alu instid0(VALU_DEP_1) | instskip(NEXT) | instid1(VALU_DEP_1)
	v_add_f64_e32 v[2:3], v[17:18], v[2:3]
	v_add_f64_e32 v[2:3], v[4:5], v[2:3]
	v_fma_f64 v[4:5], v[111:112], s[12:13], v[149:150]
	s_delay_alu instid0(VALU_DEP_1) | instskip(SKIP_1) | instid1(VALU_DEP_1)
	v_add_f64_e32 v[2:3], v[4:5], v[2:3]
	v_fma_f64 v[4:5], v[121:122], s[26:27], v[133:134]
	v_add_f64_e32 v[2:3], v[4:5], v[2:3]
	v_fma_f64 v[4:5], v[129:130], s[18:19], v[131:132]
	s_delay_alu instid0(VALU_DEP_1) | instskip(SKIP_1) | instid1(VALU_DEP_1)
	v_add_f64_e32 v[2:3], v[4:5], v[2:3]
	v_fma_f64 v[4:5], v[139:140], s[8:9], v[125:126]
	;; [unrolled: 5-line block ×3, first 2 shown]
	v_add_f64_e32 v[2:3], v[4:5], v[2:3]
	v_fma_f64 v[4:5], v[153:154], s[24:25], -v[109:110]
	s_delay_alu instid0(VALU_DEP_1) | instskip(SKIP_1) | instid1(VALU_DEP_3)
	v_add_f64_e32 v[0:1], v[4:5], v[0:1]
	s_wait_loadcnt 0x1
	v_mul_f64_e32 v[4:5], v[2:3], v[6:7]
	s_delay_alu instid0(VALU_DEP_2) | instskip(SKIP_1) | instid1(VALU_DEP_2)
	v_mul_f64_e32 v[6:7], v[0:1], v[6:7]
	s_wait_loadcnt 0x0
	v_fma_f64 v[57:58], v[0:1], v[8:9], -v[4:5]
	v_fma_f64 v[0:1], v[89:90], s[8:9], -v[239:240]
	v_fma_f64 v[4:5], v[103:104], s[18:19], v[235:236]
	s_delay_alu instid0(VALU_DEP_4) | instskip(SKIP_1) | instid1(VALU_DEP_4)
	v_fma_f64 v[55:56], v[2:3], v[8:9], v[6:7]
	v_fma_f64 v[2:3], v[91:92], s[18:19], -v[225:226]
	v_add_f64_e32 v[0:1], v[19:20], v[0:1]
	s_clause 0x1
	scratch_load_b64 v[6:7], off, off offset:124 th:TH_LOAD_LU
	scratch_load_b64 v[8:9], off, off offset:116 th:TH_LOAD_LU
	v_add_f64_e32 v[0:1], v[2:3], v[0:1]
	v_fma_f64 v[2:3], v[105:106], s[16:17], -v[219:220]
	s_delay_alu instid0(VALU_DEP_1) | instskip(SKIP_1) | instid1(VALU_DEP_1)
	v_add_f64_e32 v[0:1], v[2:3], v[0:1]
	v_fma_f64 v[2:3], v[113:114], s[10:11], -v[253:254]
	v_add_f64_e32 v[0:1], v[2:3], v[0:1]
	v_fma_f64 v[2:3], v[119:120], s[26:27], -v[211:212]
	s_delay_alu instid0(VALU_DEP_1) | instskip(SKIP_1) | instid1(VALU_DEP_1)
	v_add_f64_e32 v[0:1], v[2:3], v[0:1]
	v_fma_f64 v[2:3], v[135:136], s[6:7], -v[209:210]
	v_add_f64_e32 v[0:1], v[2:3], v[0:1]
	v_fma_f64 v[2:3], v[101:102], s[8:9], v[233:234]
	s_delay_alu instid0(VALU_DEP_1) | instskip(NEXT) | instid1(VALU_DEP_1)
	v_add_f64_e32 v[2:3], v[17:18], v[2:3]
	v_add_f64_e32 v[2:3], v[4:5], v[2:3]
	v_fma_f64 v[4:5], v[111:112], s[16:17], v[237:238]
	s_delay_alu instid0(VALU_DEP_1) | instskip(SKIP_1) | instid1(VALU_DEP_1)
	v_add_f64_e32 v[2:3], v[4:5], v[2:3]
	v_fma_f64 v[4:5], v[121:122], s[10:11], v[223:224]
	v_add_f64_e32 v[2:3], v[4:5], v[2:3]
	v_fma_f64 v[4:5], v[129:130], s[26:27], v[221:222]
	s_delay_alu instid0(VALU_DEP_1) | instskip(SKIP_1) | instid1(VALU_DEP_1)
	v_add_f64_e32 v[2:3], v[4:5], v[2:3]
	v_fma_f64 v[4:5], v[139:140], s[6:7], v[249:250]
	v_add_f64_e32 v[2:3], v[4:5], v[2:3]
	v_fma_f64 v[4:5], v[143:144], s[24:25], -v[251:252]
	s_delay_alu instid0(VALU_DEP_1) | instskip(SKIP_1) | instid1(VALU_DEP_1)
	v_add_f64_e32 v[0:1], v[4:5], v[0:1]
	v_fma_f64 v[4:5], v[145:146], s[24:25], v[217:218]
	v_add_f64_e32 v[2:3], v[4:5], v[2:3]
	v_fma_f64 v[4:5], v[147:148], s[12:13], v[215:216]
	s_delay_alu instid0(VALU_DEP_1) | instskip(SKIP_1) | instid1(VALU_DEP_1)
	v_add_f64_e32 v[4:5], v[4:5], v[2:3]
	v_fma_f64 v[2:3], v[153:154], s[12:13], -v[213:214]
	v_add_f64_e32 v[0:1], v[2:3], v[0:1]
	s_wait_loadcnt 0x1
	s_delay_alu instid0(VALU_DEP_3) | instskip(NEXT) | instid1(VALU_DEP_2)
	v_mul_f64_e32 v[2:3], v[4:5], v[6:7]
	v_mul_f64_e32 v[6:7], v[0:1], v[6:7]
	s_wait_loadcnt 0x0
	s_delay_alu instid0(VALU_DEP_2) | instskip(NEXT) | instid1(VALU_DEP_2)
	v_fma_f64 v[2:3], v[0:1], v[8:9], -v[2:3]
	v_fma_f64 v[0:1], v[4:5], v[8:9], v[6:7]
	s_clause 0x2
	scratch_load_b64 v[4:5], off, off offset:248 th:TH_LOAD_LU
	scratch_load_b64 v[6:7], off, off offset:304 th:TH_LOAD_LU
	;; [unrolled: 1-line block ×3, first 2 shown]
	s_wait_loadcnt 0x2
	v_fma_f64 v[4:5], v[89:90], s[26:27], -v[4:5]
	s_wait_loadcnt 0x1
	v_fma_f64 v[6:7], v[101:102], s[26:27], v[6:7]
	s_wait_loadcnt 0x0
	v_fma_f64 v[8:9], v[91:92], s[24:25], -v[8:9]
	s_delay_alu instid0(VALU_DEP_3) | instskip(NEXT) | instid1(VALU_DEP_3)
	v_add_f64_e32 v[4:5], v[19:20], v[4:5]
	v_add_f64_e32 v[6:7], v[17:18], v[6:7]
	s_clause 0x1
	scratch_load_b64 v[16:17], off, off offset:336 th:TH_LOAD_LU
	scratch_load_b64 v[18:19], off, off offset:392 th:TH_LOAD_LU
	v_add_f64_e32 v[4:5], v[8:9], v[4:5]
	v_add_f64_e32 v[6:7], v[10:11], v[6:7]
	s_clause 0x1
	scratch_load_b64 v[10:11], off, off offset:344 th:TH_LOAD_LU
	scratch_load_b64 v[8:9], off, off offset:296 th:TH_LOAD_LU
	s_wait_loadcnt 0x3
	v_fma_f64 v[16:17], v[111:112], s[18:19], v[16:17]
	s_wait_loadcnt 0x2
	v_fma_f64 v[18:19], v[139:140], s[10:11], v[18:19]
	;; [unrolled: 2-line block ×3, first 2 shown]
	s_delay_alu instid0(VALU_DEP_3)
	v_add_f64_e32 v[6:7], v[16:17], v[6:7]
	scratch_load_b64 v[16:17], off, off offset:352 th:TH_LOAD_LU ; 8-byte Folded Reload
	v_add_f64_e32 v[6:7], v[10:11], v[6:7]
	scratch_load_b64 v[10:11], off, off offset:320 th:TH_LOAD_LU ; 8-byte Folded Reload
	s_wait_loadcnt 0x2
	v_fma_f64 v[8:9], v[105:106], s[18:19], -v[8:9]
	s_delay_alu instid0(VALU_DEP_1)
	v_add_f64_e32 v[4:5], v[8:9], v[4:5]
	scratch_load_b64 v[8:9], off, off offset:328 th:TH_LOAD_LU ; 8-byte Folded Reload
	s_wait_loadcnt 0x1
	v_fma_f64 v[10:11], v[119:120], s[12:13], -v[10:11]
	s_wait_loadcnt 0x0
	v_fma_f64 v[8:9], v[113:114], s[16:17], -v[8:9]
	s_delay_alu instid0(VALU_DEP_1)
	v_add_f64_e32 v[4:5], v[8:9], v[4:5]
	scratch_load_b64 v[8:9], off, off offset:360 th:TH_LOAD_LU ; 8-byte Folded Reload
	v_add_f64_e32 v[4:5], v[10:11], v[4:5]
	scratch_load_b64 v[10:11], off, off offset:416 th:TH_LOAD_LU ; 8-byte Folded Reload
	s_wait_loadcnt 0x1
	v_fma_f64 v[8:9], v[129:130], s[12:13], v[8:9]
	s_delay_alu instid0(VALU_DEP_1)
	v_add_f64_e32 v[6:7], v[8:9], v[6:7]
	scratch_load_b64 v[8:9], off, off offset:384 th:TH_LOAD_LU ; 8-byte Folded Reload
	v_add_f64_e32 v[6:7], v[18:19], v[6:7]
	scratch_load_b64 v[18:19], off, off offset:408 th:TH_LOAD_LU ; 8-byte Folded Reload
	s_wait_loadcnt 0x2
	v_fma_f64 v[10:11], v[145:146], s[8:9], v[10:11]
	s_delay_alu instid0(VALU_DEP_1) | instskip(SKIP_2) | instid1(VALU_DEP_1)
	v_add_f64_e32 v[6:7], v[10:11], v[6:7]
	scratch_load_b64 v[10:11], off, off offset:108 th:TH_LOAD_LU ; 8-byte Folded Reload
	v_fma_f64 v[16:17], v[135:136], s[10:11], -v[16:17]
	v_add_f64_e32 v[4:5], v[16:17], v[4:5]
	scratch_load_b64 v[16:17], off, off offset:448 th:TH_LOAD_LU ; 8-byte Folded Reload
	s_wait_loadcnt 0x3
	v_fma_f64 v[8:9], v[143:144], s[8:9], -v[8:9]
	s_delay_alu instid0(VALU_DEP_1) | instskip(SKIP_2) | instid1(VALU_DEP_1)
	v_add_f64_e32 v[4:5], v[8:9], v[4:5]
	s_wait_loadcnt 0x2
	v_fma_f64 v[18:19], v[147:148], s[6:7], v[18:19]
	v_add_f64_e32 v[8:9], v[18:19], v[6:7]
	s_wait_loadcnt 0x0
	v_fma_f64 v[16:17], v[153:154], s[6:7], -v[16:17]
	s_delay_alu instid0(VALU_DEP_1) | instskip(SKIP_4) | instid1(VALU_DEP_2)
	v_add_f64_e32 v[4:5], v[16:17], v[4:5]
	scratch_load_b64 v[16:17], off, off offset:100 th:TH_LOAD_LU ; 8-byte Folded Reload
	v_mul_f64_e32 v[6:7], v[8:9], v[10:11]
	v_mul_f64_e32 v[10:11], v[4:5], v[10:11]
	s_wait_loadcnt 0x0
	v_fma_f64 v[6:7], v[4:5], v[16:17], -v[6:7]
	s_delay_alu instid0(VALU_DEP_2) | instskip(SKIP_4) | instid1(VALU_DEP_1)
	v_fma_f64 v[4:5], v[8:9], v[16:17], v[10:11]
	scratch_load_b32 v8, off, off offset:220 th:TH_LOAD_LU ; 4-byte Folded Reload
	v_mov_b32_e32 v9, 0
	s_wait_loadcnt 0x0
	v_mul_hi_u32 v8, 0x226b903, v8
	v_mad_u32_u24 v18, 0x121, v8, v255
	scratch_load_b32 v8, off, off th:TH_LOAD_LU ; 4-byte Folded Reload
	v_add_nc_u32_e32 v16, 0x44, v18
	v_add_nc_u32_e32 v17, 0x55, v18
	;; [unrolled: 1-line block ×3, first 2 shown]
	s_delay_alu instid0(VALU_DEP_3) | instskip(NEXT) | instid1(VALU_DEP_3)
	v_mul_lo_u32 v16, s0, v16
	v_mul_lo_u32 v20, s0, v17
	s_wait_loadcnt 0x0
	v_mul_lo_u32 v19, s2, v8
	v_mul_lo_u32 v8, s0, v18
	s_wait_alu 0xfffe
	s_delay_alu instid0(VALU_DEP_1) | instskip(NEXT) | instid1(VALU_DEP_1)
	v_add3_u32 v8, v19, v8, s1
	v_lshlrev_b64_e32 v[10:11], 4, v[8:9]
	v_add_nc_u32_e32 v8, 17, v18
	s_delay_alu instid0(VALU_DEP_1) | instskip(NEXT) | instid1(VALU_DEP_3)
	v_mul_lo_u32 v8, s0, v8
	v_add_co_u32 v10, vcc_lo, s14, v10
	s_wait_alu 0xfffd
	s_delay_alu instid0(VALU_DEP_4) | instskip(NEXT) | instid1(VALU_DEP_3)
	v_add_co_ci_u32_e32 v11, vcc_lo, s15, v11, vcc_lo
	v_add3_u32 v8, v19, v8, s1
	global_store_b128 v[10:11], v[49:52], off
	v_lshlrev_b64_e32 v[10:11], 4, v[8:9]
	v_add_nc_u32_e32 v8, 34, v18
	s_delay_alu instid0(VALU_DEP_1) | instskip(NEXT) | instid1(VALU_DEP_3)
	v_mul_lo_u32 v8, s0, v8
	v_add_co_u32 v10, vcc_lo, s14, v10
	s_wait_alu 0xfffd
	s_delay_alu instid0(VALU_DEP_4) | instskip(NEXT) | instid1(VALU_DEP_3)
	v_add_co_ci_u32_e32 v11, vcc_lo, s15, v11, vcc_lo
	v_add3_u32 v8, v19, v8, s1
	global_store_b128 v[10:11], v[161:164], off
	;; [unrolled: 10-line block ×3, first 2 shown]
	v_lshlrev_b64_e32 v[10:11], 4, v[8:9]
	v_add3_u32 v8, v19, v16, s1
	s_delay_alu instid0(VALU_DEP_2) | instskip(SKIP_1) | instid1(VALU_DEP_3)
	v_add_co_u32 v10, vcc_lo, s14, v10
	s_wait_alu 0xfffd
	v_add_co_ci_u32_e32 v11, vcc_lo, s15, v11, vcc_lo
	s_delay_alu instid0(VALU_DEP_3)
	v_lshlrev_b64_e32 v[16:17], 4, v[8:9]
	v_add3_u32 v8, v19, v20, s1
	v_mul_lo_u32 v20, s0, v21
	global_store_b128 v[10:11], v[4:7], off
	v_add_nc_u32_e32 v10, 0x77, v18
	v_add_co_u32 v6, vcc_lo, s14, v16
	v_lshlrev_b64_e32 v[4:5], 4, v[8:9]
	s_delay_alu instid0(VALU_DEP_3)
	v_mul_lo_u32 v16, s0, v10
	v_add_nc_u32_e32 v10, 0x88, v18
	v_add3_u32 v8, v19, v20, s1
	s_wait_alu 0xfffd
	v_add_co_ci_u32_e32 v7, vcc_lo, s15, v17, vcc_lo
	v_add_co_u32 v4, vcc_lo, s14, v4
	v_mul_lo_u32 v17, s0, v10
	v_lshlrev_b64_e32 v[10:11], 4, v[8:9]
	v_add3_u32 v8, v19, v16, s1
	s_wait_alu 0xfffd
	v_add_co_ci_u32_e32 v5, vcc_lo, s15, v5, vcc_lo
	s_clause 0x1
	global_store_b128 v[6:7], v[0:3], off
	global_store_b128 v[4:5], v[55:58], off
	v_lshlrev_b64_e32 v[0:1], 4, v[8:9]
	v_add3_u32 v8, v19, v17, s1
	v_add_co_u32 v2, vcc_lo, s14, v10
	s_wait_alu 0xfffd
	v_add_co_ci_u32_e32 v3, vcc_lo, s15, v11, vcc_lo
	s_delay_alu instid0(VALU_DEP_3) | instskip(SKIP_4) | instid1(VALU_DEP_4)
	v_lshlrev_b64_e32 v[4:5], 4, v[8:9]
	v_add_co_u32 v0, vcc_lo, s14, v0
	s_wait_alu 0xfffd
	v_add_co_ci_u32_e32 v1, vcc_lo, s15, v1, vcc_lo
	v_add_nc_u32_e32 v16, 0x99, v18
	v_add_co_u32 v4, vcc_lo, s14, v4
	s_wait_alu 0xfffd
	v_add_co_ci_u32_e32 v5, vcc_lo, s15, v5, vcc_lo
	s_clause 0x2
	global_store_b128 v[2:3], v[29:32], off
	global_store_b128 v[0:1], v[25:28], off
	;; [unrolled: 1-line block ×3, first 2 shown]
	scratch_load_b128 v[12:15], off, off offset:84 th:TH_LOAD_LU ; 16-byte Folded Reload
	v_mul_lo_u32 v6, s0, v16
	v_add_nc_u32_e32 v7, 0xaa, v18
	v_add_nc_u32_e32 v11, 0xbb, v18
	s_delay_alu instid0(VALU_DEP_2) | instskip(NEXT) | instid1(VALU_DEP_2)
	v_mul_lo_u32 v10, s0, v7
	v_mul_lo_u32 v11, s0, v11
	v_add3_u32 v8, v19, v6, s1
	s_delay_alu instid0(VALU_DEP_1) | instskip(NEXT) | instid1(VALU_DEP_4)
	v_lshlrev_b64_e32 v[6:7], 4, v[8:9]
	v_add3_u32 v8, v19, v10, s1
	v_add_nc_u32_e32 v10, 0xcc, v18
	s_delay_alu instid0(VALU_DEP_2) | instskip(NEXT) | instid1(VALU_DEP_2)
	v_lshlrev_b64_e32 v[0:1], 4, v[8:9]
	v_mul_lo_u32 v10, s0, v10
	v_add3_u32 v8, v19, v11, s1
	v_add_co_u32 v2, vcc_lo, s14, v6
	v_add_nc_u32_e32 v6, 0xdd, v18
	s_wait_alu 0xfffd
	v_add_co_ci_u32_e32 v3, vcc_lo, s15, v7, vcc_lo
	v_lshlrev_b64_e32 v[4:5], 4, v[8:9]
	v_add_co_u32 v0, vcc_lo, s14, v0
	v_add3_u32 v8, v19, v10, s1
	v_mul_lo_u32 v10, s0, v6
	v_add_nc_u32_e32 v6, 0xee, v18
	s_wait_alu 0xfffd
	v_add_co_ci_u32_e32 v1, vcc_lo, s15, v1, vcc_lo
	v_add_co_u32 v4, vcc_lo, s14, v4
	s_wait_alu 0xfffd
	v_add_co_ci_u32_e32 v5, vcc_lo, s15, v5, vcc_lo
	v_mul_lo_u32 v11, s0, v6
	global_store_b128 v[2:3], v[33:36], off
	v_add_nc_u32_e32 v2, 0xff, v18
	v_lshlrev_b64_e32 v[6:7], 4, v[8:9]
	v_add3_u32 v8, v19, v10, s1
	global_store_b128 v[0:1], v[157:160], off
	v_mul_lo_u32 v10, s0, v2
	v_lshlrev_b64_e32 v[0:1], 4, v[8:9]
	v_add3_u32 v8, v19, v11, s1
	v_add_co_u32 v2, vcc_lo, s14, v6
	s_wait_alu 0xfffd
	v_add_co_ci_u32_e32 v3, vcc_lo, s15, v7, vcc_lo
	s_delay_alu instid0(VALU_DEP_4)
	v_add_co_u32 v0, vcc_lo, s14, v0
	s_wait_alu 0xfffd
	v_add_co_ci_u32_e32 v1, vcc_lo, s15, v1, vcc_lo
	s_wait_loadcnt 0x0
	global_store_b128 v[4:5], v[12:15], off
	v_add_nc_u32_e32 v4, 0x110, v18
	s_delay_alu instid0(VALU_DEP_1) | instskip(SKIP_2) | instid1(VALU_DEP_1)
	v_mul_lo_u32 v11, s0, v4
	v_lshlrev_b64_e32 v[4:5], 4, v[8:9]
	v_add3_u32 v8, v19, v10, s1
	v_lshlrev_b64_e32 v[6:7], 4, v[8:9]
	s_delay_alu instid0(VALU_DEP_4)
	v_add3_u32 v8, v19, v11, s1
	scratch_load_b128 v[10:13], off, off offset:68 th:TH_LOAD_LU ; 16-byte Folded Reload
	v_add_co_u32 v4, vcc_lo, s14, v4
	s_wait_alu 0xfffd
	v_add_co_ci_u32_e32 v5, vcc_lo, s15, v5, vcc_lo
	v_add_co_u32 v6, vcc_lo, s14, v6
	s_wait_alu 0xfffd
	v_add_co_ci_u32_e32 v7, vcc_lo, s15, v7, vcc_lo
	v_lshlrev_b64_e32 v[8:9], 4, v[8:9]
	s_delay_alu instid0(VALU_DEP_1) | instskip(SKIP_1) | instid1(VALU_DEP_2)
	v_add_co_u32 v8, vcc_lo, s14, v8
	s_wait_alu 0xfffd
	v_add_co_ci_u32_e32 v9, vcc_lo, s15, v9, vcc_lo
	s_wait_loadcnt 0x0
	global_store_b128 v[2:3], v[10:13], off
	scratch_load_b128 v[10:13], off, off offset:52 th:TH_LOAD_LU ; 16-byte Folded Reload
	s_wait_loadcnt 0x0
	global_store_b128 v[0:1], v[10:13], off
	scratch_load_b128 v[0:3], off, off offset:36 th:TH_LOAD_LU ; 16-byte Folded Reload
	;; [unrolled: 3-line block ×4, first 2 shown]
	s_wait_loadcnt 0x0
	global_store_b128 v[8:9], v[0:3], off
.LBB0_51:
	s_endpgm
	.section	.rodata,"a",@progbits
	.p2align	6, 0x0
	.amdhsa_kernel fft_rtc_back_len289_factors_17_17_wgs_119_tpt_17_dp_op_CI_CI_sbcc_twdbase6_3step_dirReg_intrinsicReadWrite
		.amdhsa_group_segment_fixed_size 0
		.amdhsa_private_segment_fixed_size 716
		.amdhsa_kernarg_size 112
		.amdhsa_user_sgpr_count 2
		.amdhsa_user_sgpr_dispatch_ptr 0
		.amdhsa_user_sgpr_queue_ptr 0
		.amdhsa_user_sgpr_kernarg_segment_ptr 1
		.amdhsa_user_sgpr_dispatch_id 0
		.amdhsa_user_sgpr_private_segment_size 0
		.amdhsa_wavefront_size32 1
		.amdhsa_uses_dynamic_stack 0
		.amdhsa_enable_private_segment 1
		.amdhsa_system_sgpr_workgroup_id_x 1
		.amdhsa_system_sgpr_workgroup_id_y 0
		.amdhsa_system_sgpr_workgroup_id_z 0
		.amdhsa_system_sgpr_workgroup_info 0
		.amdhsa_system_vgpr_workitem_id 0
		.amdhsa_next_free_vgpr 256
		.amdhsa_next_free_sgpr 64
		.amdhsa_reserve_vcc 1
		.amdhsa_float_round_mode_32 0
		.amdhsa_float_round_mode_16_64 0
		.amdhsa_float_denorm_mode_32 3
		.amdhsa_float_denorm_mode_16_64 3
		.amdhsa_fp16_overflow 0
		.amdhsa_workgroup_processor_mode 1
		.amdhsa_memory_ordered 1
		.amdhsa_forward_progress 0
		.amdhsa_round_robin_scheduling 0
		.amdhsa_exception_fp_ieee_invalid_op 0
		.amdhsa_exception_fp_denorm_src 0
		.amdhsa_exception_fp_ieee_div_zero 0
		.amdhsa_exception_fp_ieee_overflow 0
		.amdhsa_exception_fp_ieee_underflow 0
		.amdhsa_exception_fp_ieee_inexact 0
		.amdhsa_exception_int_div_zero 0
	.end_amdhsa_kernel
	.text
.Lfunc_end0:
	.size	fft_rtc_back_len289_factors_17_17_wgs_119_tpt_17_dp_op_CI_CI_sbcc_twdbase6_3step_dirReg_intrinsicReadWrite, .Lfunc_end0-fft_rtc_back_len289_factors_17_17_wgs_119_tpt_17_dp_op_CI_CI_sbcc_twdbase6_3step_dirReg_intrinsicReadWrite
                                        ; -- End function
	.section	.AMDGPU.csdata,"",@progbits
; Kernel info:
; codeLenInByte = 21092
; NumSgprs: 66
; NumVgprs: 256
; ScratchSize: 716
; MemoryBound: 0
; FloatMode: 240
; IeeeMode: 1
; LDSByteSize: 0 bytes/workgroup (compile time only)
; SGPRBlocks: 8
; VGPRBlocks: 31
; NumSGPRsForWavesPerEU: 66
; NumVGPRsForWavesPerEU: 256
; Occupancy: 5
; WaveLimiterHint : 1
; COMPUTE_PGM_RSRC2:SCRATCH_EN: 1
; COMPUTE_PGM_RSRC2:USER_SGPR: 2
; COMPUTE_PGM_RSRC2:TRAP_HANDLER: 0
; COMPUTE_PGM_RSRC2:TGID_X_EN: 1
; COMPUTE_PGM_RSRC2:TGID_Y_EN: 0
; COMPUTE_PGM_RSRC2:TGID_Z_EN: 0
; COMPUTE_PGM_RSRC2:TIDIG_COMP_CNT: 0
	.text
	.p2alignl 7, 3214868480
	.fill 96, 4, 3214868480
	.type	__hip_cuid_e315309c806a9203,@object ; @__hip_cuid_e315309c806a9203
	.section	.bss,"aw",@nobits
	.globl	__hip_cuid_e315309c806a9203
__hip_cuid_e315309c806a9203:
	.byte	0                               ; 0x0
	.size	__hip_cuid_e315309c806a9203, 1

	.ident	"AMD clang version 19.0.0git (https://github.com/RadeonOpenCompute/llvm-project roc-6.4.0 25133 c7fe45cf4b819c5991fe208aaa96edf142730f1d)"
	.section	".note.GNU-stack","",@progbits
	.addrsig
	.addrsig_sym __hip_cuid_e315309c806a9203
	.amdgpu_metadata
---
amdhsa.kernels:
  - .args:
      - .actual_access:  read_only
        .address_space:  global
        .offset:         0
        .size:           8
        .value_kind:     global_buffer
      - .address_space:  global
        .offset:         8
        .size:           8
        .value_kind:     global_buffer
      - .offset:         16
        .size:           8
        .value_kind:     by_value
      - .actual_access:  read_only
        .address_space:  global
        .offset:         24
        .size:           8
        .value_kind:     global_buffer
      - .actual_access:  read_only
        .address_space:  global
        .offset:         32
        .size:           8
        .value_kind:     global_buffer
      - .actual_access:  read_only
        .address_space:  global
        .offset:         40
        .size:           8
        .value_kind:     global_buffer
      - .offset:         48
        .size:           8
        .value_kind:     by_value
      - .actual_access:  read_only
        .address_space:  global
        .offset:         56
        .size:           8
        .value_kind:     global_buffer
      - .actual_access:  read_only
        .address_space:  global
        .offset:         64
        .size:           8
        .value_kind:     global_buffer
      - .offset:         72
        .size:           4
        .value_kind:     by_value
      - .actual_access:  read_only
        .address_space:  global
        .offset:         80
        .size:           8
        .value_kind:     global_buffer
      - .actual_access:  read_only
        .address_space:  global
        .offset:         88
        .size:           8
        .value_kind:     global_buffer
      - .actual_access:  read_only
        .address_space:  global
        .offset:         96
        .size:           8
        .value_kind:     global_buffer
      - .actual_access:  write_only
        .address_space:  global
        .offset:         104
        .size:           8
        .value_kind:     global_buffer
    .group_segment_fixed_size: 0
    .kernarg_segment_align: 8
    .kernarg_segment_size: 112
    .language:       OpenCL C
    .language_version:
      - 2
      - 0
    .max_flat_workgroup_size: 119
    .name:           fft_rtc_back_len289_factors_17_17_wgs_119_tpt_17_dp_op_CI_CI_sbcc_twdbase6_3step_dirReg_intrinsicReadWrite
    .private_segment_fixed_size: 716
    .sgpr_count:     66
    .sgpr_spill_count: 0
    .symbol:         fft_rtc_back_len289_factors_17_17_wgs_119_tpt_17_dp_op_CI_CI_sbcc_twdbase6_3step_dirReg_intrinsicReadWrite.kd
    .uniform_work_group_size: 1
    .uses_dynamic_stack: false
    .vgpr_count:     256
    .vgpr_spill_count: 219
    .wavefront_size: 32
    .workgroup_processor_mode: 1
amdhsa.target:   amdgcn-amd-amdhsa--gfx1201
amdhsa.version:
  - 1
  - 2
...

	.end_amdgpu_metadata
